;; amdgpu-corpus repo=ROCm/rocFFT kind=compiled arch=gfx1201 opt=O3
	.text
	.amdgcn_target "amdgcn-amd-amdhsa--gfx1201"
	.amdhsa_code_object_version 6
	.protected	fft_rtc_fwd_len169_factors_13_13_wgs_156_tpt_13_sp_op_CI_CI_sbrc_z_xy_aligned ; -- Begin function fft_rtc_fwd_len169_factors_13_13_wgs_156_tpt_13_sp_op_CI_CI_sbrc_z_xy_aligned
	.globl	fft_rtc_fwd_len169_factors_13_13_wgs_156_tpt_13_sp_op_CI_CI_sbrc_z_xy_aligned
	.p2align	8
	.type	fft_rtc_fwd_len169_factors_13_13_wgs_156_tpt_13_sp_op_CI_CI_sbrc_z_xy_aligned,@function
fft_rtc_fwd_len169_factors_13_13_wgs_156_tpt_13_sp_op_CI_CI_sbrc_z_xy_aligned: ; @fft_rtc_fwd_len169_factors_13_13_wgs_156_tpt_13_sp_op_CI_CI_sbrc_z_xy_aligned
; %bb.0:
	s_load_b256 s[4:11], s[0:1], 0x0
	v_add_nc_u32_e32 v3, 0x138, v0
	v_dual_mov_b32 v9, 0 :: v_dual_add_nc_u32 v2, 0x9c, v0
	v_mul_u32_u24_e32 v1, 0x184, v0
	v_add_nc_u32_e32 v4, 0x1d4, v0
	s_delay_alu instid0(VALU_DEP_4)
	v_mul_u32_u24_e32 v7, 0x184, v3
	v_add_nc_u32_e32 v5, 0x270, v0
	v_add_nc_u32_e32 v31, 0x618, v0
	v_lshrrev_b32_e32 v6, 16, v1
	v_mul_u32_u24_e32 v1, 0x184, v2
	v_lshrrev_b32_e32 v21, 16, v7
	v_mul_u32_u24_e32 v8, 0x184, v4
	v_mul_u32_u24_e32 v10, 0x184, v5
	v_mul_lo_u16 v11, 0xa9, v6
	v_lshrrev_b32_e32 v14, 16, v1
	v_add_nc_u32_e32 v33, 0x6b4, v0
	v_lshrrev_b32_e32 v23, 16, v8
	v_lshrrev_b32_e32 v24, 16, v10
	v_sub_nc_u16 v1, v0, v11
	s_wait_kmcnt 0x0
	s_load_b128 s[16:19], s[8:9], 0x8
	s_clause 0x1
	s_load_b128 s[12:15], s[0:1], 0x58
	s_load_b64 s[20:21], s[0:1], 0x20
	v_mul_lo_u16 v8, 0xa9, v14
	v_mul_lo_u16 v10, 0xa9, v21
	;; [unrolled: 1-line block ×4, first 2 shown]
	v_and_b32_e32 v15, 0xffff, v1
	v_sub_nc_u16 v1, v2, v8
	v_sub_nc_u16 v2, v3, v10
	;; [unrolled: 1-line block ×4, first 2 shown]
	s_wait_kmcnt 0x0
	s_mov_b32 s17, 0
	v_and_b32_e32 v16, 0xffff, v1
	v_and_b32_e32 v17, 0xffff, v2
	;; [unrolled: 1-line block ×4, first 2 shown]
	s_mov_b32 s9, s17
	s_add_co_i32 s0, s16, -1
	s_delay_alu instid0(SALU_CYCLE_1) | instskip(NEXT) | instid1(SALU_CYCLE_1)
	s_mul_hi_u32 s0, s0, 0xaaaaaaab
	s_lshr_b32 s16, s0, 3
	s_delay_alu instid0(SALU_CYCLE_1) | instskip(NEXT) | instid1(SALU_CYCLE_1)
	s_add_co_i32 s19, s16, 1
	s_mul_i32 s18, s19, s18
	s_cvt_f32_u32 s22, s19
	s_cvt_f32_u32 s0, s18
	s_sub_co_i32 s23, 0, s18
	s_delay_alu instid0(SALU_CYCLE_2) | instskip(SKIP_3) | instid1(TRANS32_DEP_1)
	v_rcp_iflag_f32_e32 v7, s0
	s_load_b128 s[0:3], s[10:11], 0x0
	s_wait_kmcnt 0x0
	s_load_b32 s3, s[10:11], 0x10
	v_readfirstlane_b32 s8, v7
	v_rcp_iflag_f32_e32 v7, s22
	s_delay_alu instid0(VALU_DEP_1) | instskip(NEXT) | instid1(SALU_CYCLE_3)
	s_mul_f32 s8, s8, 0x4f7ffffe
	s_cvt_u32_f32 s8, s8
	v_mad_co_u64_u32 v[1:2], null, s0, v15, 0
	s_delay_alu instid0(SALU_CYCLE_2) | instskip(SKIP_3) | instid1(TRANS32_DEP_1)
	s_mul_i32 s23, s23, s8
	v_mul_lo_u32 v8, s2, v6
	s_wait_alu 0xfffe
	s_mul_hi_u32 s22, s8, s23
	v_readfirstlane_b32 s23, v7
	s_wait_alu 0xfffe
	s_add_co_i32 s8, s8, s22
	v_mad_co_u64_u32 v[3:4], null, s0, v16, 0
	s_mul_hi_u32 s8, ttmp9, s8
	s_mul_f32 s23, s23, 0x4f7ffffe
	s_mul_i32 s22, s8, s18
	s_add_co_i32 s24, s8, 1
	s_wait_alu 0xfffe
	s_sub_co_i32 s22, ttmp9, s22
	v_mad_co_u64_u32 v[10:11], null, s0, v18, 0
	s_wait_alu 0xfffe
	s_sub_co_i32 s25, s22, s18
	s_cmp_ge_u32 s22, s18
	v_mad_co_u64_u32 v[5:6], null, s0, v17, 0
	s_cselect_b32 s8, s24, s8
	s_cselect_b32 s22, s25, s22
	s_add_co_i32 s24, s8, 1
	s_wait_alu 0xfffe
	s_cmp_ge_u32 s22, s18
	s_cvt_u32_f32 s22, s23
	s_cselect_b32 s8, s24, s8
	s_not_b32 s16, s16
	s_mul_i32 s18, s8, s18
	s_wait_alu 0xfffe
	s_mul_i32 s16, s16, s22
	s_sub_co_i32 s18, ttmp9, s18
	s_mul_hi_u32 s16, s22, s16
	v_lshlrev_b64_e32 v[12:13], 3, v[8:9]
	s_add_co_i32 s22, s22, s16
	v_mul_lo_u32 v8, s2, v14
	s_wait_alu 0xfffe
	s_mul_hi_u32 s16, s18, s22
	s_mul_hi_u32 s22, ttmp9, s22
	s_mul_i32 s23, s16, s19
	v_mad_co_u64_u32 v[14:15], null, s1, v15, v[2:3]
	s_wait_alu 0xfffe
	s_sub_co_i32 s18, s18, s23
	s_add_co_i32 s23, s16, 1
	s_sub_co_i32 s24, s18, s19
	s_cmp_ge_u32 s18, s19
	v_mov_b32_e32 v7, v11
	s_wait_alu 0xfffe
	s_cselect_b32 s16, s23, s16
	s_cselect_b32 s18, s24, s18
	s_add_co_i32 s23, s16, 1
	s_cmp_ge_u32 s18, s19
	s_mul_i32 s18, s22, s19
	s_wait_alu 0xfffe
	s_cselect_b32 s22, s23, s16
	s_sub_co_i32 s16, ttmp9, s18
	v_mad_co_u64_u32 v[15:16], null, s1, v16, v[4:5]
	s_sub_co_i32 s18, s16, s19
	s_cmp_ge_u32 s16, s19
	v_mad_co_u64_u32 v[16:17], null, s1, v17, v[6:7]
	s_cselect_b32 s16, s18, s16
	v_mov_b32_e32 v2, v14
	s_sub_co_i32 s18, s16, s19
	s_cmp_ge_u32 s16, s19
	v_mov_b32_e32 v4, v15
	s_cselect_b32 s16, s18, s16
	s_lshl_b64 s[18:19], s[6:7], 3
	s_wait_kmcnt 0x0
	s_wait_alu 0xfffe
	s_mul_i32 s3, s22, s3
	s_add_nc_u64 s[6:7], s[10:11], s[18:19]
	v_mad_co_u64_u32 v[17:18], null, s1, v18, v[7:8]
	s_load_b64 s[10:11], s[6:7], 0x0
	s_mul_i32 s6, s16, 12
	v_lshlrev_b64_e32 v[1:2], 3, v[1:2]
	s_mul_i32 s7, s6, s2
	v_mov_b32_e32 v6, v16
	s_add_co_i32 s16, s7, s3
	s_delay_alu instid0(VALU_DEP_3) | instskip(SKIP_3) | instid1(VALU_DEP_3)
	v_dual_mov_b32 v11, v17 :: v_dual_add_nc_u32 v22, 0x30c, v0
	s_lshl_b64 s[24:25], s[16:17], 3
	v_lshlrev_b64_e32 v[3:4], 3, v[3:4]
	v_lshlrev_b64_e32 v[5:6], 3, v[5:6]
	v_mul_u32_u24_e32 v20, 0xc1f, v22
	v_lshlrev_b64_e32 v[18:19], 3, v[8:9]
	v_mul_lo_u32 v8, s2, v21
	v_lshlrev_b64_e32 v[10:11], 3, v[10:11]
	s_mov_b32 s7, s17
	v_lshrrev_b32_e32 v26, 19, v20
	v_mad_co_u64_u32 v[20:21], null, s0, v25, 0
	s_wait_kmcnt 0x0
	s_mul_u64 s[10:11], s[10:11], s[8:9]
	s_delay_alu instid0(VALU_DEP_4) | instskip(SKIP_3) | instid1(SALU_CYCLE_1)
	v_lshlrev_b64_e32 v[14:15], 3, v[8:9]
	s_lshl_b64 s[10:11], s[10:11], 3
	v_mul_lo_u32 v8, s2, v23
	s_add_nc_u64 s[10:11], s[12:13], s[10:11]
	s_add_nc_u64 s[10:11], s[10:11], s[24:25]
	s_delay_alu instid0(SALU_CYCLE_1)
	v_add_co_u32 v1, vcc_lo, s10, v1
	v_add_co_ci_u32_e32 v2, vcc_lo, s11, v2, vcc_lo
	v_add_co_u32 v3, vcc_lo, s10, v3
	s_wait_alu 0xfffd
	v_add_co_ci_u32_e32 v4, vcc_lo, s11, v4, vcc_lo
	v_add_co_u32 v5, vcc_lo, s10, v5
	s_wait_alu 0xfffd
	;; [unrolled: 3-line block ×3, first 2 shown]
	v_add_co_ci_u32_e32 v2, vcc_lo, v2, v13, vcc_lo
	v_mul_lo_u16 v12, 0xa9, v26
	v_add_co_u32 v3, vcc_lo, v3, v18
	s_wait_alu 0xfffd
	v_add_co_ci_u32_e32 v4, vcc_lo, v4, v19, vcc_lo
	v_add_co_u32 v5, vcc_lo, v5, v14
	v_sub_nc_u16 v12, v22, v12
	s_wait_alu 0xfffd
	v_add_co_ci_u32_e32 v6, vcc_lo, v6, v15, vcc_lo
	v_lshlrev_b64_e32 v[7:8], 3, v[8:9]
	v_add_co_u32 v13, vcc_lo, s10, v10
	v_add_nc_u32_e32 v18, 0x3a8, v0
	s_wait_alu 0xfffd
	v_add_co_ci_u32_e32 v11, vcc_lo, s11, v11, vcc_lo
	v_mov_b32_e32 v10, v21
	v_and_b32_e32 v16, 0xffff, v12
	v_add_co_u32 v7, vcc_lo, v13, v7
	v_mul_u32_u24_e32 v13, 0xc1f, v18
	s_wait_alu 0xfffd
	v_add_co_ci_u32_e32 v8, vcc_lo, v11, v8, vcc_lo
	v_mad_co_u64_u32 v[10:11], null, s1, v25, v[10:11]
	v_mad_co_u64_u32 v[11:12], null, s0, v16, 0
	v_lshrrev_b32_e32 v23, 19, v13
	s_clause 0x3
	global_load_b64 v[1:2], v[1:2], off
	global_load_b64 v[3:4], v[3:4], off
	;; [unrolled: 1-line block ×4, first 2 shown]
	v_mul_lo_u32 v8, s2, v24
	v_dual_mov_b32 v21, v10 :: v_dual_add_nc_u32 v22, 0x444, v0
	v_mul_lo_u16 v10, 0xa9, v23
	v_mov_b32_e32 v7, v12
	s_delay_alu instid0(VALU_DEP_3) | instskip(NEXT) | instid1(VALU_DEP_2)
	v_lshlrev_b64_e32 v[12:13], 3, v[20:21]
	v_mad_co_u64_u32 v[16:17], null, s1, v16, v[7:8]
	s_delay_alu instid0(VALU_DEP_4) | instskip(SKIP_3) | instid1(VALU_DEP_4)
	v_sub_nc_u16 v7, v18, v10
	v_mul_u32_u24_e32 v10, 0xc1f, v22
	v_lshlrev_b64_e32 v[17:18], 3, v[8:9]
	v_add_co_u32 v21, vcc_lo, s10, v12
	v_and_b32_e32 v24, 0xffff, v7
	s_delay_alu instid0(VALU_DEP_4)
	v_lshrrev_b32_e32 v25, 19, v10
	s_wait_alu 0xfffd
	v_add_co_ci_u32_e32 v13, vcc_lo, s11, v13, vcc_lo
	v_mov_b32_e32 v12, v16
	v_mad_co_u64_u32 v[19:20], null, s0, v24, 0
	v_mul_lo_u16 v7, 0xa9, v25
	v_mul_lo_u32 v8, s2, v26
	v_add_co_u32 v16, vcc_lo, v21, v17
	v_add_nc_u32_e32 v26, 0x4e0, v0
	s_wait_alu 0xfffd
	v_add_co_ci_u32_e32 v17, vcc_lo, v13, v18, vcc_lo
	v_sub_nc_u16 v18, v22, v7
	v_mov_b32_e32 v7, v20
	v_mul_u32_u24_e32 v20, 0xc1f, v26
	v_lshlrev_b64_e32 v[10:11], 3, v[11:12]
	v_lshlrev_b64_e32 v[12:13], 3, v[8:9]
	v_and_b32_e32 v18, 0xffff, v18
	v_mad_co_u64_u32 v[7:8], null, s1, v24, v[7:8]
	v_lshrrev_b32_e32 v29, 19, v20
	v_add_co_u32 v8, vcc_lo, s10, v10
	s_delay_alu instid0(VALU_DEP_4) | instskip(NEXT) | instid1(VALU_DEP_3)
	v_mad_co_u64_u32 v[21:22], null, s0, v18, 0
	v_mul_lo_u16 v24, 0xa9, v29
	s_wait_alu 0xfffd
	v_add_co_ci_u32_e32 v11, vcc_lo, s11, v11, vcc_lo
	v_add_co_u32 v10, vcc_lo, v8, v12
	v_mul_lo_u32 v8, s2, v23
	v_dual_mov_b32 v20, v7 :: v_dual_mov_b32 v7, v22
	v_sub_nc_u16 v22, v26, v24
	s_wait_alu 0xfffd
	v_add_co_ci_u32_e32 v11, vcc_lo, v11, v13, vcc_lo
	s_delay_alu instid0(VALU_DEP_3) | instskip(SKIP_3) | instid1(VALU_DEP_3)
	v_lshlrev_b64_e32 v[12:13], 3, v[19:20]
	v_add_nc_u32_e32 v26, 0x57c, v0
	v_and_b32_e32 v24, 0xffff, v22
	v_mad_co_u64_u32 v[18:19], null, s1, v18, v[7:8]
	v_mul_u32_u24_e32 v27, 0xc1f, v26
	v_add_co_u32 v7, vcc_lo, s10, v12
	s_delay_alu instid0(VALU_DEP_4)
	v_mad_co_u64_u32 v[19:20], null, s0, v24, 0
	s_wait_alu 0xfffd
	v_add_co_ci_u32_e32 v23, vcc_lo, s11, v13, vcc_lo
	v_lshlrev_b64_e32 v[12:13], 3, v[8:9]
	v_mov_b32_e32 v22, v18
	v_lshrrev_b32_e32 v18, 19, v27
	v_mul_lo_u32 v8, s2, v25
	s_delay_alu instid0(VALU_DEP_4) | instskip(SKIP_1) | instid1(VALU_DEP_4)
	v_add_co_u32 v12, vcc_lo, v7, v12
	v_mov_b32_e32 v7, v20
	v_mul_lo_u16 v25, 0xa9, v18
	v_lshlrev_b64_e32 v[20:21], 3, v[21:22]
	s_wait_alu 0xfffd
	v_add_co_ci_u32_e32 v13, vcc_lo, v23, v13, vcc_lo
	v_lshlrev_b64_e32 v[22:23], 3, v[8:9]
	v_mad_co_u64_u32 v[7:8], null, s1, v24, v[7:8]
	v_sub_nc_u16 v8, v26, v25
	v_add_co_u32 v20, vcc_lo, s10, v20
	s_wait_alu 0xfffd
	v_add_co_ci_u32_e32 v24, vcc_lo, s11, v21, vcc_lo
	s_delay_alu instid0(VALU_DEP_3) | instskip(NEXT) | instid1(VALU_DEP_3)
	v_and_b32_e32 v30, 0xffff, v8
	v_add_co_u32 v21, vcc_lo, v20, v22
	v_mov_b32_e32 v20, v7
	v_mul_u32_u24_e32 v7, 0xc1f, v31
	s_wait_alu 0xfffd
	v_add_co_ci_u32_e32 v22, vcc_lo, v24, v23, vcc_lo
	v_mad_co_u64_u32 v[23:24], null, s0, v30, 0
	s_delay_alu instid0(VALU_DEP_3)
	v_lshrrev_b32_e32 v32, 19, v7
	v_mul_lo_u32 v8, s2, v29
	v_add_nc_u32_e32 v29, 0x750, v0
	s_clause 0x3
	global_load_b64 v[16:17], v[16:17], off
	global_load_b64 v[25:26], v[10:11], off
	;; [unrolled: 1-line block ×4, first 2 shown]
	v_lshlrev_b64_e32 v[10:11], 3, v[19:20]
	v_mul_lo_u16 v19, 0xa9, v32
	v_mov_b32_e32 v7, v24
	v_mul_u32_u24_e32 v20, 0xc1f, v33
	s_delay_alu instid0(VALU_DEP_2) | instskip(NEXT) | instid1(VALU_DEP_4)
	v_mad_co_u64_u32 v[12:13], null, s1, v30, v[7:8]
	v_sub_nc_u16 v13, v31, v19
	s_delay_alu instid0(VALU_DEP_3)
	v_lshrrev_b32_e32 v20, 19, v20
	v_mul_u32_u24_e32 v19, 0xc1f, v29
	v_lshlrev_b64_e32 v[7:8], 3, v[8:9]
	v_add_co_u32 v30, vcc_lo, s10, v10
	v_and_b32_e32 v34, 0xffff, v13
	v_mul_lo_u16 v13, 0xa9, v20
	v_lshrrev_b32_e32 v35, 19, v19
	s_wait_alu 0xfffd
	v_add_co_ci_u32_e32 v31, vcc_lo, s11, v11, vcc_lo
	v_mad_co_u64_u32 v[10:11], null, s0, v34, 0
	v_sub_nc_u16 v19, v33, v13
	v_mul_lo_u16 v33, 0xa9, v35
	v_mov_b32_e32 v24, v12
	v_add_co_u32 v12, vcc_lo, v30, v7
	s_wait_alu 0xfffd
	v_add_co_ci_u32_e32 v13, vcc_lo, v31, v8, vcc_lo
	v_sub_nc_u16 v29, v29, v33
	v_and_b32_e32 v33, 0xffff, v19
	v_mul_lo_u32 v8, s2, v18
	v_lshlrev_b64_e32 v[18:19], 3, v[23:24]
	s_delay_alu instid0(VALU_DEP_4) | instskip(NEXT) | instid1(VALU_DEP_4)
	v_dual_mov_b32 v7, v11 :: v_dual_and_b32 v36, 0xffff, v29
	v_mad_co_u64_u32 v[23:24], null, s0, v33, 0
	s_delay_alu instid0(VALU_DEP_2) | instskip(NEXT) | instid1(VALU_DEP_4)
	v_mad_co_u64_u32 v[29:30], null, s1, v34, v[7:8]
	v_add_co_u32 v34, vcc_lo, s10, v18
	s_delay_alu instid0(VALU_DEP_4)
	v_mad_co_u64_u32 v[30:31], null, s0, v36, 0
	s_wait_alu 0xfffd
	v_add_co_ci_u32_e32 v37, vcc_lo, s11, v19, vcc_lo
	v_lshlrev_b64_e32 v[18:19], 3, v[8:9]
	v_mul_lo_u32 v8, s2, v32
	v_mov_b32_e32 v7, v24
	v_mov_b32_e32 v11, v29
	s_delay_alu instid0(VALU_DEP_4) | instskip(NEXT) | instid1(VALU_DEP_2)
	v_add_co_u32 v18, vcc_lo, v34, v18
	v_lshlrev_b64_e32 v[10:11], 3, v[10:11]
	s_delay_alu instid0(VALU_DEP_4) | instskip(SKIP_4) | instid1(VALU_DEP_3)
	v_mad_co_u64_u32 v[32:33], null, s1, v33, v[7:8]
	v_mov_b32_e32 v7, v31
	v_lshlrev_b64_e32 v[33:34], 3, v[8:9]
	s_wait_alu 0xfffd
	v_add_co_ci_u32_e32 v19, vcc_lo, v37, v19, vcc_lo
	v_mad_co_u64_u32 v[7:8], null, s1, v36, v[7:8]
	v_mul_lo_u32 v8, s2, v20
	v_mov_b32_e32 v24, v32
	v_add_co_u32 v20, vcc_lo, s10, v10
	s_wait_alu 0xfffd
	v_add_co_ci_u32_e32 v29, vcc_lo, s11, v11, vcc_lo
	v_mov_b32_e32 v31, v7
	v_lshlrev_b64_e32 v[10:11], 3, v[23:24]
	v_add_co_u32 v23, vcc_lo, v20, v33
	v_lshlrev_b64_e32 v[32:33], 3, v[8:9]
	v_mul_lo_u32 v8, s2, v35
	s_wait_alu 0xfffd
	v_add_co_ci_u32_e32 v24, vcc_lo, v29, v34, vcc_lo
	v_lshlrev_b64_e32 v[29:30], 3, v[30:31]
	v_add_co_u32 v10, vcc_lo, s10, v10
	s_wait_alu 0xfffd
	v_add_co_ci_u32_e32 v11, vcc_lo, s11, v11, vcc_lo
	v_lshlrev_b64_e32 v[7:8], 3, v[8:9]
	s_delay_alu instid0(VALU_DEP_4)
	v_add_co_u32 v20, vcc_lo, s10, v29
	s_wait_alu 0xfffd
	v_add_co_ci_u32_e32 v29, vcc_lo, s11, v30, vcc_lo
	v_add_co_u32 v10, vcc_lo, v10, v32
	s_wait_alu 0xfffd
	v_add_co_ci_u32_e32 v11, vcc_lo, v11, v33, vcc_lo
	v_add_co_u32 v7, vcc_lo, v20, v7
	s_wait_alu 0xfffd
	v_add_co_ci_u32_e32 v8, vcc_lo, v29, v8, vcc_lo
	s_clause 0x4
	global_load_b64 v[29:30], v[12:13], off
	global_load_b64 v[18:19], v[18:19], off
	global_load_b64 v[23:24], v[23:24], off
	global_load_b64 v[31:32], v[10:11], off
	global_load_b64 v[7:8], v[7:8], off
	v_mul_u32_u24_e32 v10, 0x13b2, v0
	v_lshl_add_u32 v20, v0, 3, 0
	s_add_nc_u64 s[10:11], s[20:21], s[18:19]
	s_clause 0x2
	s_load_b128 s[0:3], s[20:21], 0x0
	s_load_b32 s12, s[20:21], 0x10
	s_load_b64 s[10:11], s[10:11], 0x0
	s_wait_kmcnt 0x0
	s_mov_b32 s3, s17
	v_lshrrev_b32_e32 v10, 16, v10
	v_add_nc_u32_e32 v33, 0x800, v20
	v_add_nc_u32_e32 v34, 0x1200, v20
	;; [unrolled: 1-line block ×5, first 2 shown]
	v_mul_lo_u16 v10, v10, 13
	v_add_nc_u32_e32 v37, 0x3000, v20
	s_wait_loadcnt 0xb
	ds_store_2addr_b64 v20, v[1:2], v[3:4] offset1:156
	s_wait_loadcnt 0x9
	ds_store_2addr_b64 v33, v[5:6], v[14:15] offset0:56 offset1:212
	s_wait_loadcnt 0x7
	ds_store_2addr_b64 v34, v[16:17], v[25:26] offset0:48 offset1:204
	;; [unrolled: 2-line block ×5, first 2 shown]
	s_wait_loadcnt 0x0
	ds_store_b64 v20, v[7:8] offset:14976
	v_mul_hi_u32 v12, 0xaaaaaaab, v11
	v_sub_nc_u16 v10, v0, v10
	global_wb scope:SCOPE_SE
	s_wait_dscnt 0x0
	s_barrier_signal -1
	s_barrier_wait -1
	global_inv scope:SCOPE_SE
	s_mul_i32 s2, s22, s2
	v_lshrrev_b32_e32 v12, 3, v12
	s_wait_alu 0xfffe
	s_lshl_b64 s[2:3], s[2:3], 3
	s_delay_alu instid0(VALU_DEP_1) | instskip(NEXT) | instid1(VALU_DEP_1)
	v_mul_lo_u32 v12, v12, 12
	v_sub_nc_u32_e32 v11, v11, v12
	v_and_b32_e32 v12, 0xffff, v10
	s_delay_alu instid0(VALU_DEP_2) | instskip(NEXT) | instid1(VALU_DEP_1)
	v_mul_u32_u24_e32 v11, 0xa9, v11
	v_lshlrev_b32_e32 v10, 3, v11
	s_delay_alu instid0(VALU_DEP_3) | instskip(NEXT) | instid1(VALU_DEP_2)
	v_lshlrev_b32_e32 v11, 3, v12
	v_add_nc_u32_e32 v13, 0, v10
	s_delay_alu instid0(VALU_DEP_2) | instskip(NEXT) | instid1(VALU_DEP_2)
	v_add3_u32 v10, 0, v11, v10
	v_add_nc_u32_e32 v11, v13, v11
	ds_load_b64 v[30:31], v11
	ds_load_2addr_b64 v[14:17], v10 offset0:13 offset1:26
	ds_load_2addr_b64 v[18:21], v10 offset0:143 offset1:156
	;; [unrolled: 1-line block ×6, first 2 shown]
	global_wb scope:SCOPE_SE
	s_wait_dscnt 0x0
	s_barrier_signal -1
	s_barrier_wait -1
	global_inv scope:SCOPE_SE
	v_add_f32_e32 v32, v30, v14
	v_dual_add_f32 v36, v18, v16 :: v_dual_add_f32 v33, v31, v15
	v_dual_add_f32 v34, v20, v14 :: v_dual_add_f32 v35, v21, v15
	v_dual_sub_f32 v14, v14, v20 :: v_dual_sub_f32 v15, v15, v21
	v_dual_add_f32 v37, v19, v17 :: v_dual_sub_f32 v38, v16, v18
	v_dual_sub_f32 v39, v17, v19 :: v_dual_add_f32 v16, v32, v16
	v_add_f32_e32 v17, v33, v17
	s_delay_alu instid0(VALU_DEP_4)
	v_dual_mul_f32 v33, 0xbeedf032, v14 :: v_dual_mul_f32 v32, 0xbeedf032, v15
	v_dual_mul_f32 v40, 0xbf52af12, v15 :: v_dual_mul_f32 v41, 0xbf52af12, v14
	;; [unrolled: 1-line block ×6, first 2 shown]
	v_dual_add_f32 v16, v16, v22 :: v_dual_add_f32 v17, v17, v23
	v_fma_f32 v60, 0x3f116cb1, v34, -v40
	s_delay_alu instid0(VALU_DEP_4) | instskip(NEXT) | instid1(VALU_DEP_3)
	v_fmamk_f32 v67, v35, 0xbf3f9e67, v47
	v_dual_fmamk_f32 v69, v35, 0xbf788fa5, v14 :: v_dual_add_f32 v16, v16, v24
	s_delay_alu instid0(VALU_DEP_3) | instskip(SKIP_3) | instid1(VALU_DEP_4)
	v_dual_add_f32 v17, v17, v25 :: v_dual_add_f32 v60, v30, v60
	v_dual_mul_f32 v52, 0xbe750f2a, v39 :: v_dual_mul_f32 v53, 0xbe750f2a, v38
	v_fma_f32 v66, 0xbf3f9e67, v34, -v46
	v_dual_fmac_f32 v46, 0xbf3f9e67, v34 :: v_dual_add_f32 v67, v31, v67
	v_dual_add_f32 v16, v16, v1 :: v_dual_add_f32 v17, v17, v2
	v_dual_mul_f32 v48, 0xbf52af12, v39 :: v_dual_mul_f32 v49, 0xbf52af12, v38
	v_dual_mul_f32 v56, 0x3f7e222b, v39 :: v_dual_mul_f32 v57, 0x3f7e222b, v38
	v_fma_f32 v58, 0x3f62ad3f, v34, -v32
	v_dual_fmamk_f32 v59, v35, 0x3f62ad3f, v33 :: v_dual_fmac_f32 v32, 0x3f62ad3f, v34
	v_fma_f32 v33, 0x3f62ad3f, v35, -v33
	v_dual_fmamk_f32 v61, v35, 0x3f116cb1, v41 :: v_dual_fmac_f32 v40, 0x3f116cb1, v34
	v_fma_f32 v41, 0x3f116cb1, v35, -v41
	v_fma_f32 v62, 0x3df6dbef, v34, -v42
	v_dual_fmamk_f32 v63, v35, 0x3df6dbef, v43 :: v_dual_fmac_f32 v42, 0x3df6dbef, v34
	v_fma_f32 v43, 0x3df6dbef, v35, -v43
	;; [unrolled: 3-line block ×3, first 2 shown]
	v_fma_f32 v47, 0xbf3f9e67, v35, -v47
	v_fma_f32 v68, 0xbf788fa5, v34, -v15
	v_fmac_f32_e32 v15, 0xbf788fa5, v34
	v_fma_f32 v14, 0xbf788fa5, v35, -v14
	v_fma_f32 v72, 0xbf788fa5, v36, -v52
	v_fmac_f32_e32 v52, 0xbf788fa5, v36
	v_dual_add_f32 v16, v16, v3 :: v_dual_add_f32 v17, v17, v4
	v_fma_f32 v34, 0x3f116cb1, v36, -v48
	v_dual_fmamk_f32 v35, v37, 0x3f116cb1, v49 :: v_dual_fmac_f32 v48, 0x3f116cb1, v36
	v_dual_fmamk_f32 v73, v37, 0xbf788fa5, v53 :: v_dual_add_f32 v58, v30, v58
	v_dual_fmamk_f32 v77, v37, 0x3df6dbef, v57 :: v_dual_add_f32 v32, v30, v32
	v_dual_add_f32 v59, v31, v59 :: v_dual_add_f32 v40, v30, v40
	v_dual_add_f32 v33, v31, v33 :: v_dual_add_f32 v62, v30, v62
	;; [unrolled: 1-line block ×8, first 2 shown]
	v_add_f32_e32 v47, v31, v47
	v_dual_add_f32 v69, v31, v69 :: v_dual_add_f32 v30, v30, v15
	v_dual_add_f32 v31, v31, v14 :: v_dual_add_f32 v32, v48, v32
	;; [unrolled: 1-line block ×3, first 2 shown]
	v_dual_mul_f32 v54, 0x3f29c268, v39 :: v_dual_mul_f32 v55, 0x3f29c268, v38
	v_dual_mul_f32 v50, 0xbf6f5d39, v39 :: v_dual_mul_f32 v51, 0xbf6f5d39, v38
	s_delay_alu instid0(VALU_DEP_3) | instskip(NEXT) | instid1(VALU_DEP_3)
	v_dual_add_f32 v14, v14, v7 :: v_dual_add_f32 v15, v15, v8
	v_fmamk_f32 v75, v37, 0xbf3f9e67, v55
	v_fma_f32 v55, 0xbf3f9e67, v37, -v55
	v_fma_f32 v49, 0x3f116cb1, v37, -v49
	s_delay_alu instid0(VALU_DEP_4) | instskip(SKIP_2) | instid1(VALU_DEP_3)
	v_dual_add_f32 v14, v14, v26 :: v_dual_add_f32 v15, v15, v27
	v_fma_f32 v70, 0xbeb58ec6, v36, -v50
	v_dual_fmamk_f32 v71, v37, 0xbeb58ec6, v51 :: v_dual_fmac_f32 v50, 0xbeb58ec6, v36
	v_dual_add_f32 v14, v14, v28 :: v_dual_add_f32 v15, v15, v29
	v_fma_f32 v51, 0xbeb58ec6, v37, -v51
	v_fma_f32 v76, 0x3df6dbef, v36, -v56
	;; [unrolled: 1-line block ×3, first 2 shown]
	s_delay_alu instid0(VALU_DEP_4) | instskip(SKIP_3) | instid1(VALU_DEP_4)
	v_dual_add_f32 v14, v14, v18 :: v_dual_add_f32 v15, v15, v19
	v_fma_f32 v74, 0xbf3f9e67, v36, -v54
	v_dual_fmac_f32 v54, 0xbf3f9e67, v36 :: v_dual_add_f32 v33, v49, v33
	v_add_f32_e32 v40, v50, v40
	v_dual_add_f32 v14, v14, v20 :: v_dual_add_f32 v15, v15, v21
	v_mul_f32_e32 v38, 0x3eedf032, v38
	v_dual_add_f32 v20, v55, v45 :: v_dual_mul_f32 v21, 0x3eedf032, v39
	v_dual_add_f32 v41, v51, v41 :: v_dual_add_f32 v42, v52, v42
	v_dual_add_f32 v39, v76, v66 :: v_dual_sub_f32 v52, v23, v29
	v_fma_f32 v50, 0x3df6dbef, v37, -v57
	s_delay_alu instid0(VALU_DEP_4) | instskip(SKIP_1) | instid1(VALU_DEP_4)
	v_fma_f32 v51, 0x3f62ad3f, v36, -v21
	v_dual_add_f32 v43, v53, v43 :: v_dual_add_f32 v44, v54, v44
	v_dual_add_f32 v53, v28, v22 :: v_dual_mul_f32 v54, 0xbf7e222b, v52
	s_delay_alu instid0(VALU_DEP_3)
	v_dual_add_f32 v47, v50, v47 :: v_dual_add_f32 v50, v51, v68
	v_dual_fmamk_f32 v51, v37, 0x3f62ad3f, v38 :: v_dual_sub_f32 v22, v22, v28
	v_dual_add_f32 v16, v34, v58 :: v_dual_add_f32 v17, v35, v59
	v_dual_add_f32 v34, v70, v60 :: v_dual_add_f32 v19, v75, v65
	v_fmac_f32_e32 v56, 0x3df6dbef, v36
	v_fma_f32 v28, 0x3f62ad3f, v37, -v38
	v_fmac_f32_e32 v21, 0x3f62ad3f, v36
	v_dual_add_f32 v23, v29, v23 :: v_dual_mul_f32 v36, 0xbf7e222b, v22
	v_fma_f32 v29, 0x3df6dbef, v53, -v54
	v_fmac_f32_e32 v54, 0x3df6dbef, v53
	v_dual_add_f32 v37, v51, v69 :: v_dual_add_f32 v28, v28, v31
	v_dual_add_f32 v21, v21, v30 :: v_dual_mul_f32 v30, 0xbe750f2a, v52
	s_delay_alu instid0(VALU_DEP_4) | instskip(NEXT) | instid1(VALU_DEP_4)
	v_dual_add_f32 v16, v29, v16 :: v_dual_fmamk_f32 v29, v23, 0x3df6dbef, v36
	v_add_f32_e32 v32, v54, v32
	v_fma_f32 v31, 0x3df6dbef, v23, -v36
	v_dual_mul_f32 v36, 0xbe750f2a, v22 :: v_dual_add_f32 v35, v71, v61
	s_delay_alu instid0(VALU_DEP_4) | instskip(SKIP_1) | instid1(VALU_DEP_4)
	v_dual_add_f32 v48, v72, v62 :: v_dual_add_f32 v17, v29, v17
	v_fma_f32 v29, 0xbf788fa5, v53, -v30
	v_dual_add_f32 v31, v31, v33 :: v_dual_mul_f32 v38, 0x3f6f5d39, v52
	v_fmac_f32_e32 v30, 0xbf788fa5, v53
	v_fmamk_f32 v33, v23, 0xbf788fa5, v36
	s_delay_alu instid0(VALU_DEP_4) | instskip(SKIP_2) | instid1(VALU_DEP_4)
	v_add_f32_e32 v29, v29, v34
	v_fma_f32 v34, 0xbf788fa5, v23, -v36
	v_dual_add_f32 v49, v73, v63 :: v_dual_add_f32 v18, v74, v64
	v_dual_add_f32 v30, v30, v40 :: v_dual_add_f32 v33, v33, v35
	v_fma_f32 v35, 0xbeb58ec6, v53, -v38
	v_mul_f32_e32 v36, 0x3f6f5d39, v22
	v_dual_mul_f32 v40, 0x3eedf032, v52 :: v_dual_mul_f32 v51, 0x3eedf032, v22
	s_delay_alu instid0(VALU_DEP_3) | instskip(NEXT) | instid1(VALU_DEP_3)
	v_dual_fmac_f32 v38, 0xbeb58ec6, v53 :: v_dual_add_f32 v35, v35, v48
	v_dual_add_f32 v34, v34, v41 :: v_dual_fmamk_f32 v41, v23, 0xbeb58ec6, v36
	v_fma_f32 v36, 0xbeb58ec6, v23, -v36
	s_delay_alu instid0(VALU_DEP_4) | instskip(NEXT) | instid1(VALU_DEP_4)
	v_fma_f32 v48, 0x3f62ad3f, v53, -v40
	v_add_f32_e32 v38, v38, v42
	s_delay_alu instid0(VALU_DEP_4) | instskip(NEXT) | instid1(VALU_DEP_4)
	v_dual_fmamk_f32 v42, v23, 0x3f62ad3f, v51 :: v_dual_add_f32 v41, v41, v49
	v_dual_add_f32 v36, v36, v43 :: v_dual_mul_f32 v43, 0xbf52af12, v52
	s_delay_alu instid0(VALU_DEP_4)
	v_add_f32_e32 v18, v48, v18
	v_mul_f32_e32 v48, 0xbf52af12, v22
	v_fma_f32 v49, 0x3f62ad3f, v23, -v51
	v_add_f32_e32 v19, v42, v19
	v_fma_f32 v42, 0x3f116cb1, v53, -v43
	v_dual_fmac_f32 v40, 0x3f62ad3f, v53 :: v_dual_add_f32 v45, v77, v67
	v_dual_add_f32 v46, v56, v46 :: v_dual_fmac_f32 v43, 0x3f116cb1, v53
	v_add_f32_e32 v20, v49, v20
	v_mul_f32_e32 v49, 0xbf29c268, v52
	s_delay_alu instid0(VALU_DEP_4) | instskip(SKIP_4) | instid1(VALU_DEP_4)
	v_dual_add_f32 v39, v42, v39 :: v_dual_add_f32 v40, v40, v44
	v_fmamk_f32 v44, v23, 0x3f116cb1, v48
	v_mul_f32_e32 v22, 0xbf29c268, v22
	v_dual_add_f32 v43, v43, v46 :: v_dual_sub_f32 v46, v25, v27
	v_mad_u32_u24 v13, 0x68, v12, v13
	v_add_f32_e32 v42, v44, v45
	v_fma_f32 v45, 0xbf3f9e67, v53, -v49
	v_fma_f32 v44, 0x3f116cb1, v23, -v48
	v_add_f32_e32 v48, v26, v24
	v_dual_sub_f32 v24, v24, v26 :: v_dual_fmac_f32 v49, 0xbf3f9e67, v53
	s_delay_alu instid0(VALU_DEP_4) | instskip(SKIP_1) | instid1(VALU_DEP_3)
	v_add_f32_e32 v45, v45, v50
	v_mul_f32_e32 v50, 0xbf6f5d39, v46
	v_mul_f32_e32 v26, 0xbf6f5d39, v24
	v_dual_add_f32 v44, v44, v47 :: v_dual_fmamk_f32 v47, v23, 0xbf3f9e67, v22
	v_fma_f32 v22, 0xbf3f9e67, v23, -v22
	v_add_f32_e32 v23, v27, v25
	v_fma_f32 v25, 0xbeb58ec6, v48, -v50
	v_add_f32_e32 v21, v49, v21
	s_delay_alu instid0(VALU_DEP_4) | instskip(NEXT) | instid1(VALU_DEP_3)
	v_dual_add_f32 v27, v47, v37 :: v_dual_add_f32 v22, v22, v28
	v_dual_mul_f32 v47, 0x3eedf032, v46 :: v_dual_add_f32 v16, v25, v16
	v_fmamk_f32 v25, v23, 0xbeb58ec6, v26
	v_dual_mul_f32 v28, 0x3f29c268, v46 :: v_dual_mul_f32 v37, 0x3f29c268, v24
	v_fma_f32 v26, 0xbeb58ec6, v23, -v26
	s_delay_alu instid0(VALU_DEP_3) | instskip(NEXT) | instid1(VALU_DEP_3)
	v_add_f32_e32 v17, v25, v17
	v_fma_f32 v25, 0xbf3f9e67, v48, -v28
	s_delay_alu instid0(VALU_DEP_3) | instskip(NEXT) | instid1(VALU_DEP_2)
	v_dual_add_f32 v26, v26, v31 :: v_dual_fmamk_f32 v31, v23, 0xbf3f9e67, v37
	v_add_f32_e32 v25, v25, v29
	v_fma_f32 v29, 0xbf3f9e67, v23, -v37
	v_mul_f32_e32 v37, 0x3eedf032, v24
	s_delay_alu instid0(VALU_DEP_4) | instskip(SKIP_1) | instid1(VALU_DEP_3)
	v_dual_fmac_f32 v50, 0xbeb58ec6, v48 :: v_dual_add_f32 v31, v31, v33
	v_fma_f32 v33, 0x3f62ad3f, v48, -v47
	v_dual_add_f32 v29, v29, v34 :: v_dual_fmamk_f32 v34, v23, 0x3f62ad3f, v37
	s_delay_alu instid0(VALU_DEP_3) | instskip(SKIP_1) | instid1(VALU_DEP_4)
	v_add_f32_e32 v32, v50, v32
	v_mul_f32_e32 v49, 0xbf7e222b, v24
	v_add_f32_e32 v33, v33, v35
	v_fma_f32 v35, 0x3f62ad3f, v23, -v37
	v_dual_add_f32 v34, v34, v41 :: v_dual_fmac_f32 v47, 0x3f62ad3f, v48
	v_mul_f32_e32 v41, 0x3e750f2a, v24
	v_mul_f32_e32 v24, 0x3f52af12, v24
	s_delay_alu instid0(VALU_DEP_4) | instskip(SKIP_4) | instid1(VALU_DEP_4)
	v_add_f32_e32 v35, v35, v36
	v_fmamk_f32 v36, v23, 0x3df6dbef, v49
	v_fmac_f32_e32 v28, 0xbf3f9e67, v48
	v_add_f32_e32 v38, v47, v38
	v_fma_f32 v47, 0x3df6dbef, v23, -v49
	v_add_f32_e32 v19, v36, v19
	s_delay_alu instid0(VALU_DEP_4) | instskip(SKIP_1) | instid1(VALU_DEP_1)
	v_add_f32_e32 v28, v28, v30
	v_mul_f32_e32 v30, 0xbf7e222b, v46
	v_fma_f32 v37, 0x3df6dbef, v48, -v30
	s_delay_alu instid0(VALU_DEP_1) | instskip(SKIP_2) | instid1(VALU_DEP_2)
	v_add_f32_e32 v18, v37, v18
	v_mul_f32_e32 v37, 0x3e750f2a, v46
	v_mul_f32_e32 v46, 0x3f52af12, v46
	v_fma_f32 v36, 0xbf788fa5, v48, -v37
	s_delay_alu instid0(VALU_DEP_1) | instskip(NEXT) | instid1(VALU_DEP_1)
	v_dual_fmac_f32 v37, 0xbf788fa5, v48 :: v_dual_add_f32 v36, v36, v39
	v_dual_add_f32 v37, v37, v43 :: v_dual_fmac_f32 v30, 0x3df6dbef, v48
	s_delay_alu instid0(VALU_DEP_1) | instskip(SKIP_1) | instid1(VALU_DEP_1)
	v_add_f32_e32 v30, v30, v40
	v_fmamk_f32 v40, v23, 0xbf788fa5, v41
	v_add_f32_e32 v39, v40, v42
	v_fma_f32 v40, 0xbf788fa5, v23, -v41
	v_fma_f32 v41, 0x3f116cb1, v48, -v46
	s_delay_alu instid0(VALU_DEP_2) | instskip(SKIP_4) | instid1(VALU_DEP_2)
	v_add_f32_e32 v40, v40, v44
	v_dual_add_f32 v44, v7, v1 :: v_dual_sub_f32 v1, v1, v7
	v_sub_f32_e32 v42, v2, v8
	v_fma_f32 v7, 0x3f116cb1, v23, -v24
	v_add_f32_e32 v41, v41, v45
	v_add_f32_e32 v7, v7, v22
	v_fmamk_f32 v43, v23, 0x3f116cb1, v24
	v_dual_mul_f32 v23, 0xbf29c268, v1 :: v_dual_add_f32 v20, v47, v20
	v_mul_f32_e32 v45, 0xbf29c268, v42
	v_mul_f32_e32 v22, 0x3f7e222b, v42
	s_delay_alu instid0(VALU_DEP_4) | instskip(SKIP_1) | instid1(VALU_DEP_4)
	v_dual_add_f32 v24, v43, v27 :: v_dual_mul_f32 v43, 0xbf52af12, v42
	v_add_f32_e32 v2, v8, v2
	v_fma_f32 v8, 0xbf3f9e67, v44, -v45
	v_fmac_f32_e32 v45, 0xbf3f9e67, v44
	s_delay_alu instid0(VALU_DEP_2) | instskip(NEXT) | instid1(VALU_DEP_4)
	v_dual_mul_f32 v27, 0x3f7e222b, v1 :: v_dual_add_f32 v8, v8, v16
	v_fmamk_f32 v16, v2, 0xbf3f9e67, v23
	v_fma_f32 v23, 0xbf3f9e67, v2, -v23
	s_delay_alu instid0(VALU_DEP_4) | instskip(NEXT) | instid1(VALU_DEP_3)
	v_dual_add_f32 v32, v45, v32 :: v_dual_mul_f32 v45, 0x3e750f2a, v1
	v_add_f32_e32 v16, v16, v17
	v_fma_f32 v17, 0x3df6dbef, v44, -v22
	s_delay_alu instid0(VALU_DEP_4) | instskip(NEXT) | instid1(VALU_DEP_2)
	v_dual_add_f32 v23, v23, v26 :: v_dual_fmamk_f32 v26, v2, 0x3df6dbef, v27
	v_dual_add_f32 v17, v17, v25 :: v_dual_fmac_f32 v46, 0x3f116cb1, v48
	v_fma_f32 v25, 0x3df6dbef, v2, -v27
	s_delay_alu instid0(VALU_DEP_3) | instskip(SKIP_2) | instid1(VALU_DEP_4)
	v_dual_add_f32 v26, v26, v31 :: v_dual_mul_f32 v31, 0xbf52af12, v1
	v_fma_f32 v27, 0x3f116cb1, v44, -v43
	v_fmac_f32_e32 v43, 0x3f116cb1, v44
	v_add_f32_e32 v25, v25, v29
	v_add_f32_e32 v21, v46, v21
	v_fmamk_f32 v29, v2, 0x3f116cb1, v31
	v_fma_f32 v31, 0x3f116cb1, v2, -v31
	v_add_f32_e32 v27, v27, v33
	s_delay_alu instid0(VALU_DEP_3) | instskip(NEXT) | instid1(VALU_DEP_3)
	v_add_f32_e32 v29, v29, v34
	v_dual_add_f32 v31, v31, v35 :: v_dual_fmac_f32 v22, 0x3df6dbef, v44
	v_mul_f32_e32 v35, 0x3eedf032, v42
	v_add_f32_e32 v34, v43, v38
	v_mul_f32_e32 v38, 0x3eedf032, v1
	v_fma_f32 v43, 0xbf788fa5, v2, -v45
	v_add_f32_e32 v22, v22, v28
	v_mul_f32_e32 v28, 0x3e750f2a, v42
	v_mul_f32_e32 v1, 0xbf6f5d39, v1
	s_delay_alu instid0(VALU_DEP_2) | instskip(NEXT) | instid1(VALU_DEP_1)
	v_fma_f32 v33, 0xbf788fa5, v44, -v28
	v_dual_add_f32 v33, v33, v18 :: v_dual_fmamk_f32 v18, v2, 0xbf788fa5, v45
	s_delay_alu instid0(VALU_DEP_1) | instskip(SKIP_2) | instid1(VALU_DEP_1)
	v_add_f32_e32 v45, v18, v19
	v_fma_f32 v18, 0x3f62ad3f, v44, -v35
	v_fmac_f32_e32 v35, 0x3f62ad3f, v44
	v_dual_fmac_f32 v28, 0xbf788fa5, v44 :: v_dual_add_f32 v35, v35, v37
	s_delay_alu instid0(VALU_DEP_1)
	v_add_f32_e32 v28, v28, v30
	v_add_f32_e32 v30, v43, v20
	v_dual_mul_f32 v20, 0xbf6f5d39, v42 :: v_dual_add_f32 v43, v6, v4
	v_sub_f32_e32 v37, v4, v6
	v_fmamk_f32 v19, v2, 0x3f62ad3f, v38
	v_add_f32_e32 v36, v18, v36
	v_fma_f32 v18, 0x3f62ad3f, v2, -v38
	v_sub_f32_e32 v42, v3, v5
	s_delay_alu instid0(VALU_DEP_4) | instskip(SKIP_1) | instid1(VALU_DEP_4)
	v_add_f32_e32 v39, v19, v39
	v_fma_f32 v19, 0xbeb58ec6, v44, -v20
	v_add_f32_e32 v38, v18, v40
	v_fmamk_f32 v18, v2, 0xbeb58ec6, v1
	v_fma_f32 v1, 0xbeb58ec6, v2, -v1
	s_delay_alu instid0(VALU_DEP_4) | instskip(SKIP_1) | instid1(VALU_DEP_3)
	v_dual_add_f32 v40, v19, v41 :: v_dual_add_f32 v41, v5, v3
	v_mul_f32_e32 v19, 0xbe750f2a, v37
	v_add_f32_e32 v47, v1, v7
	s_delay_alu instid0(VALU_DEP_2) | instskip(SKIP_1) | instid1(VALU_DEP_2)
	v_fma_f32 v2, 0xbf788fa5, v41, -v19
	v_fmac_f32_e32 v19, 0xbf788fa5, v41
	v_add_f32_e32 v1, v2, v8
	v_mul_f32_e32 v3, 0xbe750f2a, v42
	v_dual_mul_f32 v7, 0x3eedf032, v37 :: v_dual_mul_f32 v6, 0x3eedf032, v42
	s_delay_alu instid0(VALU_DEP_2) | instskip(NEXT) | instid1(VALU_DEP_2)
	v_fmamk_f32 v2, v43, 0xbf788fa5, v3
	v_fma_f32 v5, 0x3f62ad3f, v41, -v7
	v_fmac_f32_e32 v7, 0x3f62ad3f, v41
	v_fmac_f32_e32 v20, 0xbeb58ec6, v44
	v_add_f32_e32 v44, v18, v24
	v_add_f32_e32 v2, v2, v16
	s_delay_alu instid0(VALU_DEP_4)
	v_dual_mul_f32 v18, 0xbf29c268, v37 :: v_dual_add_f32 v7, v7, v22
	v_mul_f32_e32 v22, 0x3f52af12, v37
	v_fma_f32 v4, 0xbf788fa5, v43, -v3
	v_add_f32_e32 v5, v5, v17
	v_dual_add_f32 v46, v20, v21 :: v_dual_add_f32 v3, v19, v32
	v_mul_f32_e32 v21, 0x3f52af12, v42
	v_fma_f32 v20, 0x3f116cb1, v41, -v22
	v_dual_add_f32 v4, v4, v23 :: v_dual_mul_f32 v19, 0xbf29c268, v42
	v_fma_f32 v16, 0x3f62ad3f, v43, -v6
	v_fma_f32 v17, 0xbf3f9e67, v41, -v18
	s_delay_alu instid0(VALU_DEP_4) | instskip(SKIP_3) | instid1(VALU_DEP_4)
	v_dual_add_f32 v20, v20, v33 :: v_dual_fmamk_f32 v23, v43, 0x3f116cb1, v21
	v_fma_f32 v24, 0x3f116cb1, v43, -v21
	v_fmamk_f32 v8, v43, 0x3f62ad3f, v6
	v_fmac_f32_e32 v22, 0x3f116cb1, v41
	v_add_f32_e32 v21, v23, v45
	s_delay_alu instid0(VALU_DEP_4) | instskip(NEXT) | instid1(VALU_DEP_4)
	v_add_f32_e32 v23, v24, v30
	v_add_f32_e32 v6, v8, v26
	;; [unrolled: 1-line block ×3, first 2 shown]
	v_dual_add_f32 v16, v17, v27 :: v_dual_mul_f32 v27, 0xbf6f5d39, v42
	v_fmamk_f32 v17, v43, 0xbf3f9e67, v19
	v_mul_f32_e32 v30, 0x3f7e222b, v37
	v_add_f32_e32 v22, v22, v28
	v_fma_f32 v19, 0xbf3f9e67, v43, -v19
	s_delay_alu instid0(VALU_DEP_4)
	v_add_f32_e32 v17, v17, v29
	v_mul_f32_e32 v29, 0x3f7e222b, v42
	ds_store_2addr_b64 v13, v[14:15], v[1:2] offset1:1
	ds_store_2addr_b64 v13, v[5:6], v[16:17] offset0:2 offset1:3
	v_mul_u32_u24_e32 v1, 12, v12
	v_fma_f32 v32, 0x3df6dbef, v43, -v29
	v_fmamk_f32 v28, v43, 0xbeb58ec6, v27
	v_fma_f32 v27, 0xbeb58ec6, v43, -v27
	v_mul_f32_e32 v26, 0xbf6f5d39, v37
	v_dual_fmac_f32 v18, 0xbf3f9e67, v41 :: v_dual_add_f32 v19, v19, v31
	v_fmamk_f32 v31, v43, 0x3df6dbef, v29
	s_delay_alu instid0(VALU_DEP_4) | instskip(NEXT) | instid1(VALU_DEP_4)
	v_add_f32_e32 v27, v27, v38
	v_fma_f32 v25, 0xbeb58ec6, v41, -v26
	v_fmac_f32_e32 v26, 0xbeb58ec6, v41
	v_lshlrev_b32_e32 v1, 3, v1
	v_add_f32_e32 v29, v31, v44
	s_delay_alu instid0(VALU_DEP_4) | instskip(SKIP_4) | instid1(VALU_DEP_3)
	v_dual_add_f32 v31, v32, v47 :: v_dual_add_f32 v24, v25, v36
	v_dual_add_f32 v25, v28, v39 :: v_dual_add_f32 v18, v18, v34
	v_fma_f32 v28, 0x3df6dbef, v41, -v30
	v_fmac_f32_e32 v30, 0x3df6dbef, v41
	v_add_f32_e32 v26, v26, v35
	v_add_f32_e32 v28, v28, v40
	s_delay_alu instid0(VALU_DEP_3)
	v_add_f32_e32 v30, v30, v46
	ds_store_2addr_b64 v13, v[20:21], v[24:25] offset0:4 offset1:5
	ds_store_2addr_b64 v13, v[28:29], v[30:31] offset0:6 offset1:7
	;; [unrolled: 1-line block ×4, first 2 shown]
	ds_store_b64 v13, v[3:4] offset:96
	global_wb scope:SCOPE_SE
	s_wait_dscnt 0x0
	s_barrier_signal -1
	s_barrier_wait -1
	global_inv scope:SCOPE_SE
	s_clause 0x5
	global_load_b128 v[12:15], v1, s[4:5]
	global_load_b128 v[16:19], v1, s[4:5] offset:16
	global_load_b128 v[20:23], v1, s[4:5] offset:32
	;; [unrolled: 1-line block ×5, first 2 shown]
	ds_load_2addr_b64 v[36:39], v10 offset0:13 offset1:26
	ds_load_b64 v[1:2], v10 offset:312
	ds_load_2addr_b32 v[5:6], v10 offset0:104 offset1:105
	ds_load_2addr_b64 v[40:43], v10 offset0:65 offset1:78
	ds_load_2addr_b64 v[44:47], v10 offset0:91 offset1:104
	ds_load_b64 v[56:57], v11
	ds_load_2addr_b64 v[48:51], v10 offset0:117 offset1:130
	ds_load_2addr_b64 v[52:55], v10 offset0:143 offset1:156
	global_wb scope:SCOPE_SE
	s_wait_loadcnt_dscnt 0x0
	s_barrier_signal -1
	s_barrier_wait -1
	global_inv scope:SCOPE_SE
	s_mul_u64 s[4:5], s[0:1], s[6:7]
	s_mul_u64 s[6:7], s[10:11], s[8:9]
	v_mul_f32_e32 v11, v13, v37
	v_dual_mul_f32 v13, v13, v36 :: v_dual_mul_f32 v60, v6, v19
	v_mul_f32_e32 v19, v19, v5
	v_dual_mul_f32 v58, v15, v39 :: v_dual_mul_f32 v61, v41, v21
	v_mul_f32_e32 v15, v15, v38
	v_fma_f32 v11, v12, v36, -v11
	s_delay_alu instid0(VALU_DEP_4)
	v_fmac_f32_e32 v19, v6, v18
	v_fmac_f32_e32 v13, v12, v37
	v_mul_f32_e32 v59, v17, v2
	v_mul_f32_e32 v17, v17, v1
	v_dual_mul_f32 v7, v40, v21 :: v_dual_mul_f32 v8, v46, v27
	v_dual_mul_f32 v21, v43, v23 :: v_dual_mul_f32 v4, v44, v25
	v_mul_f32_e32 v3, v42, v23
	v_dual_mul_f32 v23, v45, v25 :: v_dual_mul_f32 v62, v51, v31
	v_dual_mul_f32 v25, v47, v27 :: v_dual_add_f32 v36, v13, v57
	v_dual_mul_f32 v27, v49, v29 :: v_dual_mul_f32 v12, v50, v31
	v_fma_f32 v31, v14, v38, -v58
	v_dual_fmac_f32 v15, v14, v39 :: v_dual_add_f32 v14, v11, v56
	v_fma_f32 v38, v16, v1, -v59
	v_dual_fmac_f32 v17, v16, v2 :: v_dual_fmac_f32 v4, v45, v24
	v_fmac_f32_e32 v3, v43, v22
	s_delay_alu instid0(VALU_DEP_4) | instskip(SKIP_3) | instid1(VALU_DEP_3)
	v_dual_add_f32 v1, v14, v31 :: v_dual_mul_f32 v14, v52, v33
	v_dual_mul_f32 v37, v53, v33 :: v_dual_add_f32 v2, v36, v15
	v_fma_f32 v33, v40, v20, -v61
	v_dual_fmac_f32 v7, v41, v20 :: v_dual_mul_f32 v20, v54, v35
	v_dual_add_f32 v1, v1, v38 :: v_dual_add_f32 v2, v2, v17
	v_fma_f32 v16, v18, v5, -v60
	v_fmac_f32_e32 v14, v53, v32
	v_fma_f32 v5, v42, v22, -v21
	v_dual_mul_f32 v29, v48, v29 :: v_dual_mul_f32 v18, v55, v35
	s_delay_alu instid0(VALU_DEP_4) | instskip(SKIP_3) | instid1(VALU_DEP_4)
	v_dual_add_f32 v2, v2, v19 :: v_dual_add_f32 v1, v1, v16
	v_fma_f32 v6, v44, v24, -v23
	v_fmac_f32_e32 v8, v47, v26
	v_fma_f32 v21, v46, v26, -v25
	v_dual_add_f32 v2, v2, v7 :: v_dual_add_f32 v1, v1, v33
	v_dual_fmac_f32 v29, v49, v28 :: v_dual_fmac_f32 v20, v55, v34
	v_fmac_f32_e32 v12, v51, v30
	s_delay_alu instid0(VALU_DEP_3) | instskip(SKIP_3) | instid1(VALU_DEP_4)
	v_dual_add_f32 v2, v2, v3 :: v_dual_add_f32 v1, v1, v5
	v_fma_f32 v22, v48, v28, -v27
	v_fma_f32 v18, v54, v34, -v18
	v_fma_f32 v23, v50, v30, -v62
	v_dual_add_f32 v2, v2, v4 :: v_dual_add_f32 v1, v1, v6
	v_fma_f32 v24, v52, v32, -v37
	s_delay_alu instid0(VALU_DEP_4) | instskip(SKIP_1) | instid1(VALU_DEP_4)
	v_add_f32_e32 v26, v11, v18
	v_sub_f32_e32 v50, v15, v14
	v_dual_add_f32 v2, v2, v8 :: v_dual_add_f32 v1, v1, v21
	v_sub_f32_e32 v25, v13, v20
	s_delay_alu instid0(VALU_DEP_3) | instskip(NEXT) | instid1(VALU_DEP_3)
	v_dual_add_f32 v52, v31, v24 :: v_dual_mul_f32 v53, 0xbf52af12, v50
	v_dual_add_f32 v2, v2, v29 :: v_dual_add_f32 v1, v1, v22
	s_delay_alu instid0(VALU_DEP_1) | instskip(NEXT) | instid1(VALU_DEP_1)
	v_dual_add_f32 v2, v2, v12 :: v_dual_mul_f32 v27, 0xbeedf032, v25
	v_add_f32_e32 v2, v2, v14
	v_sub_f32_e32 v11, v11, v18
	s_delay_alu instid0(VALU_DEP_3) | instskip(SKIP_1) | instid1(VALU_DEP_4)
	v_fma_f32 v28, 0x3f62ad3f, v26, -v27
	v_add_f32_e32 v1, v1, v23
	v_dual_fmac_f32 v27, 0x3f62ad3f, v26 :: v_dual_add_f32 v2, v2, v20
	s_delay_alu instid0(VALU_DEP_4) | instskip(NEXT) | instid1(VALU_DEP_4)
	v_dual_add_f32 v13, v13, v20 :: v_dual_mul_f32 v30, 0xbeedf032, v11
	v_add_f32_e32 v28, v28, v56
	s_delay_alu instid0(VALU_DEP_4) | instskip(SKIP_2) | instid1(VALU_DEP_3)
	v_dual_add_f32 v1, v1, v24 :: v_dual_mul_f32 v20, 0xbf52af12, v25
	v_mul_f32_e32 v32, 0xbf52af12, v11
	v_dual_mul_f32 v36, 0xbf7e222b, v25 :: v_dual_mul_f32 v39, 0xbf7e222b, v11
	v_add_f32_e32 v1, v1, v18
	v_fmamk_f32 v18, v13, 0x3f62ad3f, v30
	v_fma_f32 v30, 0x3f62ad3f, v13, -v30
	v_fmamk_f32 v35, v13, 0x3f116cb1, v32
	v_fma_f32 v32, 0x3f116cb1, v13, -v32
	v_mul_f32_e32 v43, 0xbf6f5d39, v11
	v_dual_mul_f32 v45, 0xbf29c268, v25 :: v_dual_mul_f32 v46, 0xbf29c268, v11
	v_add_f32_e32 v30, v30, v57
	s_delay_alu instid0(VALU_DEP_4)
	v_add_f32_e32 v32, v32, v57
	v_fma_f32 v34, 0x3f116cb1, v26, -v20
	v_fma_f32 v37, 0x3df6dbef, v26, -v36
	v_fmac_f32_e32 v20, 0x3f116cb1, v26
	v_fmamk_f32 v44, v13, 0xbeb58ec6, v43
	v_fma_f32 v47, 0xbf3f9e67, v26, -v45
	v_mul_f32_e32 v40, 0xbf6f5d39, v25
	v_mul_f32_e32 v11, 0xbe750f2a, v11
	v_add_f32_e32 v37, v37, v56
	v_dual_add_f32 v20, v20, v56 :: v_dual_fmamk_f32 v41, v13, 0x3df6dbef, v39
	v_fma_f32 v39, 0x3df6dbef, v13, -v39
	v_fma_f32 v43, 0xbeb58ec6, v13, -v43
	v_add_f32_e32 v47, v47, v56
	v_fma_f32 v42, 0xbeb58ec6, v26, -v40
	v_fmac_f32_e32 v45, 0xbf3f9e67, v26
	v_fmac_f32_e32 v40, 0xbeb58ec6, v26
	v_fmamk_f32 v51, v13, 0xbf788fa5, v11
	v_fma_f32 v11, 0xbf788fa5, v13, -v11
	v_fmamk_f32 v48, v13, 0xbf3f9e67, v46
	v_fma_f32 v46, 0xbf3f9e67, v13, -v46
	v_dual_add_f32 v13, v15, v14 :: v_dual_add_f32 v44, v44, v57
	v_mul_f32_e32 v25, 0xbe750f2a, v25
	v_add_f32_e32 v45, v45, v56
	v_add_f32_e32 v40, v40, v56
	;; [unrolled: 1-line block ×3, first 2 shown]
	v_sub_f32_e32 v24, v31, v24
	v_fma_f32 v49, 0xbf788fa5, v26, -v25
	v_fmac_f32_e32 v25, 0xbf788fa5, v26
	v_fma_f32 v14, 0x3f116cb1, v52, -v53
	v_dual_add_f32 v18, v18, v57 :: v_dual_add_f32 v27, v27, v56
	v_mul_f32_e32 v15, 0xbf52af12, v24
	v_dual_fmac_f32 v36, 0x3df6dbef, v26 :: v_dual_add_f32 v41, v41, v57
	v_add_f32_e32 v26, v51, v57
	v_dual_add_f32 v14, v14, v28 :: v_dual_mul_f32 v31, 0xbf6f5d39, v50
	s_delay_alu instid0(VALU_DEP_4) | instskip(SKIP_4) | instid1(VALU_DEP_4)
	v_fmamk_f32 v28, v13, 0x3f116cb1, v15
	v_fma_f32 v15, 0x3f116cb1, v13, -v15
	v_dual_add_f32 v34, v34, v56 :: v_dual_add_f32 v35, v35, v57
	v_mul_f32_e32 v51, 0xbf6f5d39, v24
	v_dual_add_f32 v36, v36, v56 :: v_dual_add_f32 v39, v39, v57
	v_add_f32_e32 v15, v15, v30
	v_dual_add_f32 v25, v25, v56 :: v_dual_add_f32 v18, v28, v18
	v_fma_f32 v28, 0xbeb58ec6, v52, -v31
	v_fmac_f32_e32 v53, 0x3f116cb1, v52
	v_fmamk_f32 v30, v13, 0xbeb58ec6, v51
	v_fmac_f32_e32 v31, 0xbeb58ec6, v52
	v_dual_add_f32 v42, v42, v56 :: v_dual_add_f32 v43, v43, v57
	s_delay_alu instid0(VALU_DEP_4) | instskip(NEXT) | instid1(VALU_DEP_3)
	v_dual_add_f32 v28, v28, v34 :: v_dual_add_f32 v27, v53, v27
	v_dual_add_f32 v20, v31, v20 :: v_dual_mul_f32 v53, 0xbe750f2a, v50
	v_add_f32_e32 v30, v30, v35
	v_fma_f32 v34, 0xbeb58ec6, v13, -v51
	v_mul_f32_e32 v51, 0xbe750f2a, v24
	v_add_f32_e32 v49, v49, v56
	v_fma_f32 v35, 0xbf788fa5, v52, -v53
	v_add_f32_e32 v11, v11, v57
	v_dual_add_f32 v31, v34, v32 :: v_dual_add_f32 v48, v48, v57
	s_delay_alu instid0(VALU_DEP_3) | instskip(SKIP_2) | instid1(VALU_DEP_3)
	v_dual_add_f32 v34, v35, v37 :: v_dual_fmamk_f32 v35, v13, 0xbf788fa5, v51
	v_mul_f32_e32 v32, 0x3f29c268, v50
	v_fma_f32 v37, 0xbf788fa5, v13, -v51
	v_dual_mul_f32 v54, 0x3f29c268, v24 :: v_dual_add_f32 v35, v35, v41
	s_delay_alu instid0(VALU_DEP_3) | instskip(NEXT) | instid1(VALU_DEP_3)
	v_fma_f32 v51, 0xbf3f9e67, v52, -v32
	v_dual_add_f32 v37, v37, v39 :: v_dual_fmac_f32 v32, 0xbf3f9e67, v52
	s_delay_alu instid0(VALU_DEP_2) | instskip(SKIP_1) | instid1(VALU_DEP_3)
	v_add_f32_e32 v39, v51, v42
	v_dual_mul_f32 v42, 0x3f7e222b, v50 :: v_dual_mul_f32 v51, 0x3f7e222b, v24
	v_add_f32_e32 v32, v32, v40
	v_mul_f32_e32 v50, 0x3eedf032, v50
	v_mul_f32_e32 v24, 0x3eedf032, v24
	s_delay_alu instid0(VALU_DEP_4) | instskip(NEXT) | instid1(VALU_DEP_1)
	v_fmamk_f32 v40, v13, 0x3df6dbef, v51
	v_dual_fmamk_f32 v41, v13, 0xbf3f9e67, v54 :: v_dual_add_f32 v40, v40, v48
	s_delay_alu instid0(VALU_DEP_1) | instskip(SKIP_4) | instid1(VALU_DEP_4)
	v_add_f32_e32 v41, v41, v44
	v_fma_f32 v44, 0x3df6dbef, v52, -v42
	v_fma_f32 v48, 0x3f62ad3f, v52, -v50
	v_fmac_f32_e32 v42, 0x3df6dbef, v52
	v_fmac_f32_e32 v50, 0x3f62ad3f, v52
	v_add_f32_e32 v44, v44, v47
	v_fma_f32 v47, 0x3df6dbef, v13, -v51
	s_delay_alu instid0(VALU_DEP_4) | instskip(NEXT) | instid1(VALU_DEP_2)
	v_dual_fmac_f32 v53, 0xbf788fa5, v52 :: v_dual_add_f32 v42, v42, v45
	v_add_f32_e32 v46, v47, v46
	s_delay_alu instid0(VALU_DEP_2)
	v_dual_add_f32 v36, v53, v36 :: v_dual_add_f32 v47, v48, v49
	v_fma_f32 v53, 0xbf3f9e67, v13, -v54
	v_add_f32_e32 v49, v38, v23
	v_sub_f32_e32 v23, v38, v23
	v_sub_f32_e32 v45, v17, v12
	v_fmamk_f32 v48, v13, 0x3f62ad3f, v24
	v_add_f32_e32 v43, v53, v43
	v_fma_f32 v13, 0x3f62ad3f, v13, -v24
	s_delay_alu instid0(VALU_DEP_4) | instskip(SKIP_1) | instid1(VALU_DEP_3)
	v_dual_mul_f32 v24, 0xbf7e222b, v23 :: v_dual_mul_f32 v51, 0xbf7e222b, v45
	v_add_f32_e32 v12, v17, v12
	v_add_f32_e32 v11, v13, v11
	;; [unrolled: 1-line block ×3, first 2 shown]
	s_delay_alu instid0(VALU_DEP_4) | instskip(SKIP_2) | instid1(VALU_DEP_3)
	v_fma_f32 v17, 0x3df6dbef, v49, -v51
	v_add_f32_e32 v26, v48, v26
	v_mul_f32_e32 v48, 0x3f6f5d39, v45
	v_dual_mul_f32 v50, 0x3eedf032, v23 :: v_dual_add_f32 v13, v17, v14
	v_fmamk_f32 v14, v12, 0x3df6dbef, v24
	v_mul_f32_e32 v17, 0xbe750f2a, v45
	v_fmac_f32_e32 v51, 0x3df6dbef, v49
	v_fma_f32 v24, 0x3df6dbef, v12, -v24
	s_delay_alu instid0(VALU_DEP_4) | instskip(NEXT) | instid1(VALU_DEP_4)
	v_add_f32_e32 v14, v14, v18
	v_fma_f32 v18, 0xbf788fa5, v49, -v17
	v_fmac_f32_e32 v17, 0xbf788fa5, v49
	v_mul_f32_e32 v38, 0xbe750f2a, v23
	s_delay_alu instid0(VALU_DEP_3) | instskip(NEXT) | instid1(VALU_DEP_3)
	v_dual_add_f32 v15, v24, v15 :: v_dual_add_f32 v18, v18, v28
	v_add_f32_e32 v17, v17, v20
	s_delay_alu instid0(VALU_DEP_3) | instskip(SKIP_2) | instid1(VALU_DEP_2)
	v_dual_add_f32 v27, v51, v27 :: v_dual_fmamk_f32 v24, v12, 0xbf788fa5, v38
	v_fma_f32 v28, 0xbf788fa5, v12, -v38
	v_mul_f32_e32 v38, 0x3f6f5d39, v23
	v_add_f32_e32 v20, v28, v31
	s_delay_alu instid0(VALU_DEP_2) | instskip(SKIP_2) | instid1(VALU_DEP_3)
	v_fmamk_f32 v31, v12, 0xbeb58ec6, v38
	v_add_f32_e32 v24, v24, v30
	v_fma_f32 v30, 0xbeb58ec6, v49, -v48
	v_dual_fmac_f32 v48, 0xbeb58ec6, v49 :: v_dual_add_f32 v31, v31, v35
	s_delay_alu instid0(VALU_DEP_1) | instskip(SKIP_3) | instid1(VALU_DEP_3)
	v_dual_add_f32 v30, v30, v34 :: v_dual_add_f32 v35, v48, v36
	v_fma_f32 v48, 0x3f62ad3f, v12, -v50
	v_mul_f32_e32 v28, 0x3eedf032, v45
	v_fma_f32 v34, 0xbeb58ec6, v12, -v38
	v_add_f32_e32 v43, v48, v43
	s_delay_alu instid0(VALU_DEP_3) | instskip(SKIP_1) | instid1(VALU_DEP_4)
	v_fma_f32 v38, 0x3f62ad3f, v49, -v28
	v_fmac_f32_e32 v28, 0x3f62ad3f, v49
	v_add_f32_e32 v34, v34, v37
	s_delay_alu instid0(VALU_DEP_3) | instskip(SKIP_1) | instid1(VALU_DEP_4)
	v_add_f32_e32 v36, v38, v39
	v_dual_mul_f32 v38, 0xbf52af12, v45 :: v_dual_mul_f32 v39, 0xbf52af12, v23
	v_dual_add_f32 v28, v28, v32 :: v_dual_mul_f32 v23, 0xbf29c268, v23
	v_mul_f32_e32 v45, 0xbf29c268, v45
	s_delay_alu instid0(VALU_DEP_3) | instskip(SKIP_1) | instid1(VALU_DEP_1)
	v_fmamk_f32 v32, v12, 0x3f116cb1, v39
	v_fma_f32 v39, 0x3f116cb1, v12, -v39
	v_add_f32_e32 v39, v39, v46
	v_fmamk_f32 v37, v12, 0x3f62ad3f, v50
	v_add_f32_e32 v46, v16, v22
	s_delay_alu instid0(VALU_DEP_2) | instskip(SKIP_1) | instid1(VALU_DEP_1)
	v_dual_sub_f32 v16, v16, v22 :: v_dual_add_f32 v37, v37, v41
	v_fma_f32 v41, 0x3f116cb1, v49, -v38
	v_dual_fmac_f32 v38, 0x3f116cb1, v49 :: v_dual_add_f32 v41, v41, v44
	s_delay_alu instid0(VALU_DEP_1)
	v_add_f32_e32 v38, v38, v42
	v_sub_f32_e32 v42, v19, v29
	v_fmamk_f32 v44, v12, 0xbf3f9e67, v23
	v_fma_f32 v12, 0xbf3f9e67, v12, -v23
	v_add_f32_e32 v19, v19, v29
	v_mul_f32_e32 v23, 0xbf6f5d39, v16
	v_add_f32_e32 v32, v32, v40
	v_fma_f32 v40, 0xbf3f9e67, v49, -v45
	v_fmac_f32_e32 v45, 0xbf3f9e67, v49
	v_add_f32_e32 v11, v12, v11
	s_delay_alu instid0(VALU_DEP_2) | instskip(SKIP_1) | instid1(VALU_DEP_1)
	v_dual_add_f32 v40, v40, v47 :: v_dual_add_f32 v25, v45, v25
	v_mul_f32_e32 v47, 0xbf6f5d39, v42
	v_fma_f32 v22, 0xbeb58ec6, v46, -v47
	s_delay_alu instid0(VALU_DEP_1) | instskip(SKIP_2) | instid1(VALU_DEP_3)
	v_dual_add_f32 v12, v22, v13 :: v_dual_fmamk_f32 v13, v19, 0xbeb58ec6, v23
	v_fmac_f32_e32 v47, 0xbeb58ec6, v46
	v_fma_f32 v23, 0xbeb58ec6, v19, -v23
	v_add_f32_e32 v13, v13, v14
	s_delay_alu instid0(VALU_DEP_3) | instskip(NEXT) | instid1(VALU_DEP_3)
	v_add_f32_e32 v27, v47, v27
	v_dual_add_f32 v15, v23, v15 :: v_dual_add_f32 v26, v44, v26
	v_mul_f32_e32 v29, 0x3f29c268, v16
	v_mul_f32_e32 v44, 0x3eedf032, v42
	;; [unrolled: 1-line block ×3, first 2 shown]
	s_delay_alu instid0(VALU_DEP_3) | instskip(NEXT) | instid1(VALU_DEP_1)
	v_fmamk_f32 v23, v19, 0xbf3f9e67, v29
	v_dual_mul_f32 v22, 0x3f29c268, v42 :: v_dual_add_f32 v23, v23, v24
	s_delay_alu instid0(VALU_DEP_1) | instskip(NEXT) | instid1(VALU_DEP_1)
	v_fma_f32 v14, 0xbf3f9e67, v46, -v22
	v_add_f32_e32 v14, v14, v18
	v_fma_f32 v18, 0xbf3f9e67, v19, -v29
	v_mul_f32_e32 v29, 0x3eedf032, v16
	v_fma_f32 v24, 0x3f62ad3f, v46, -v44
	v_fmac_f32_e32 v44, 0x3f62ad3f, v46
	v_fmac_f32_e32 v22, 0xbf3f9e67, v46
	s_delay_alu instid0(VALU_DEP_1) | instskip(SKIP_4) | instid1(VALU_DEP_4)
	v_dual_add_f32 v17, v22, v17 :: v_dual_add_f32 v22, v24, v30
	v_fmamk_f32 v24, v19, 0x3f62ad3f, v29
	v_fma_f32 v29, 0x3f62ad3f, v19, -v29
	v_add_f32_e32 v18, v18, v20
	v_mul_f32_e32 v20, 0xbf7e222b, v42
	v_add_f32_e32 v24, v24, v31
	v_add_f32_e32 v31, v44, v35
	v_mul_f32_e32 v35, 0x3e750f2a, v42
	s_delay_alu instid0(VALU_DEP_4) | instskip(SKIP_3) | instid1(VALU_DEP_4)
	v_fma_f32 v30, 0x3df6dbef, v46, -v20
	v_fmac_f32_e32 v20, 0x3df6dbef, v46
	v_mul_f32_e32 v42, 0x3f52af12, v42
	v_dual_add_f32 v29, v29, v34 :: v_dual_fmamk_f32 v34, v19, 0x3df6dbef, v45
	v_add_f32_e32 v30, v30, v36
	v_mul_f32_e32 v36, 0x3e750f2a, v16
	v_add_f32_e32 v20, v20, v28
	v_mul_f32_e32 v16, 0x3f52af12, v16
	v_fma_f32 v44, 0x3df6dbef, v19, -v45
	s_delay_alu instid0(VALU_DEP_1) | instskip(NEXT) | instid1(VALU_DEP_1)
	v_dual_fmamk_f32 v28, v19, 0xbf788fa5, v36 :: v_dual_add_f32 v43, v44, v43
	v_add_f32_e32 v28, v28, v32
	v_fma_f32 v32, 0xbf788fa5, v19, -v36
	v_fma_f32 v36, 0x3f116cb1, v46, -v42
	s_delay_alu instid0(VALU_DEP_1)
	v_add_f32_e32 v36, v36, v40
	v_add_f32_e32 v40, v33, v21
	v_sub_f32_e32 v21, v33, v21
	v_add_f32_e32 v34, v34, v37
	v_fma_f32 v37, 0xbf788fa5, v46, -v35
	v_fmac_f32_e32 v35, 0xbf788fa5, v46
	s_delay_alu instid0(VALU_DEP_4) | instskip(NEXT) | instid1(VALU_DEP_3)
	v_mul_f32_e32 v33, 0x3f7e222b, v21
	v_add_f32_e32 v37, v37, v41
	s_delay_alu instid0(VALU_DEP_3) | instskip(SKIP_2) | instid1(VALU_DEP_2)
	v_add_f32_e32 v35, v35, v38
	v_sub_f32_e32 v38, v7, v8
	v_add_f32_e32 v7, v7, v8
	v_dual_mul_f32 v41, 0xbf29c268, v38 :: v_dual_add_f32 v32, v32, v39
	s_delay_alu instid0(VALU_DEP_1) | instskip(SKIP_1) | instid1(VALU_DEP_1)
	v_fma_f32 v8, 0xbf3f9e67, v40, -v41
	v_fmac_f32_e32 v41, 0xbf3f9e67, v40
	v_dual_add_f32 v8, v8, v12 :: v_dual_add_f32 v27, v41, v27
	v_fmamk_f32 v39, v19, 0x3f116cb1, v16
	v_fma_f32 v16, 0x3f116cb1, v19, -v16
	v_mul_f32_e32 v19, 0xbf29c268, v21
	s_delay_alu instid0(VALU_DEP_3) | instskip(NEXT) | instid1(VALU_DEP_2)
	v_dual_mul_f32 v41, 0x3e750f2a, v21 :: v_dual_add_f32 v26, v39, v26
	v_dual_add_f32 v11, v16, v11 :: v_dual_fmamk_f32 v12, v7, 0xbf3f9e67, v19
	v_mul_f32_e32 v16, 0x3f7e222b, v38
	v_fma_f32 v19, 0xbf3f9e67, v7, -v19
	s_delay_alu instid0(VALU_DEP_3) | instskip(NEXT) | instid1(VALU_DEP_2)
	v_dual_mul_f32 v39, 0xbf52af12, v38 :: v_dual_add_f32 v12, v12, v13
	v_add_f32_e32 v15, v19, v15
	v_fmamk_f32 v19, v7, 0x3df6dbef, v33
	v_fma_f32 v13, 0x3df6dbef, v40, -v16
	s_delay_alu instid0(VALU_DEP_2) | instskip(NEXT) | instid1(VALU_DEP_2)
	v_dual_fmac_f32 v42, 0x3f116cb1, v46 :: v_dual_add_f32 v19, v19, v23
	v_add_f32_e32 v13, v13, v14
	v_fma_f32 v14, 0x3df6dbef, v7, -v33
	v_fma_f32 v23, 0x3f116cb1, v40, -v39
	v_mul_f32_e32 v33, 0xbf52af12, v21
	v_fmac_f32_e32 v39, 0x3f116cb1, v40
	v_add_f32_e32 v25, v42, v25
	v_add_f32_e32 v14, v14, v18
	;; [unrolled: 1-line block ×3, first 2 shown]
	v_fma_f32 v23, 0x3f116cb1, v7, -v33
	v_fmamk_f32 v22, v7, 0x3f116cb1, v33
	s_delay_alu instid0(VALU_DEP_2) | instskip(NEXT) | instid1(VALU_DEP_1)
	v_dual_add_f32 v23, v23, v29 :: v_dual_fmac_f32 v16, 0x3df6dbef, v40
	v_dual_add_f32 v16, v16, v17 :: v_dual_mul_f32 v17, 0x3e750f2a, v38
	s_delay_alu instid0(VALU_DEP_1) | instskip(SKIP_1) | instid1(VALU_DEP_2)
	v_fma_f32 v33, 0xbf788fa5, v40, -v17
	v_fmac_f32_e32 v17, 0xbf788fa5, v40
	v_add_f32_e32 v29, v33, v30
	v_fma_f32 v33, 0xbf788fa5, v7, -v41
	v_fmamk_f32 v30, v7, 0xbf788fa5, v41
	s_delay_alu instid0(VALU_DEP_4) | instskip(NEXT) | instid1(VALU_DEP_3)
	v_add_f32_e32 v20, v17, v20
	v_dual_add_f32 v33, v33, v43 :: v_dual_add_f32 v22, v22, v24
	v_dual_add_f32 v24, v39, v31 :: v_dual_mul_f32 v39, 0x3eedf032, v21
	v_mul_f32_e32 v31, 0x3eedf032, v38
	v_dual_add_f32 v30, v30, v34 :: v_dual_mul_f32 v21, 0xbf6f5d39, v21
	s_delay_alu instid0(VALU_DEP_3) | instskip(NEXT) | instid1(VALU_DEP_3)
	v_fmamk_f32 v17, v7, 0x3f62ad3f, v39
	v_fma_f32 v34, 0x3f62ad3f, v40, -v31
	v_fmac_f32_e32 v31, 0x3f62ad3f, v40
	v_mul_f32_e32 v38, 0xbf6f5d39, v38
	s_delay_alu instid0(VALU_DEP_4) | instskip(NEXT) | instid1(VALU_DEP_4)
	v_add_f32_e32 v28, v17, v28
	v_add_f32_e32 v34, v34, v37
	v_fma_f32 v37, 0x3f62ad3f, v7, -v39
	v_add_f32_e32 v31, v31, v35
	v_fma_f32 v17, 0xbeb58ec6, v40, -v38
	v_dual_sub_f32 v39, v5, v6 :: v_dual_fmac_f32 v38, 0xbeb58ec6, v40
	v_sub_f32_e32 v35, v3, v4
	v_add_f32_e32 v40, v3, v4
	s_delay_alu instid0(VALU_DEP_3)
	v_mul_f32_e32 v4, 0xbe750f2a, v39
	v_add_f32_e32 v32, v37, v32
	v_add_f32_e32 v37, v5, v6
	v_mul_f32_e32 v5, 0xbe750f2a, v35
	v_fma_f32 v6, 0xbeb58ec6, v7, -v21
	v_dual_add_f32 v36, v17, v36 :: v_dual_fmamk_f32 v17, v7, 0xbeb58ec6, v21
	v_mul_f32_e32 v21, 0x3f52af12, v39
	s_delay_alu instid0(VALU_DEP_4) | instskip(NEXT) | instid1(VALU_DEP_4)
	v_fma_f32 v3, 0xbf788fa5, v37, -v5
	v_add_f32_e32 v41, v6, v11
	v_mul_f32_e32 v11, 0x3eedf032, v35
	v_dual_fmamk_f32 v6, v40, 0xbf788fa5, v4 :: v_dual_fmac_f32 v5, 0xbf788fa5, v37
	s_delay_alu instid0(VALU_DEP_4) | instskip(SKIP_1) | instid1(VALU_DEP_3)
	v_dual_add_f32 v26, v17, v26 :: v_dual_add_f32 v3, v3, v8
	v_fma_f32 v7, 0xbf788fa5, v40, -v4
	v_add_f32_e32 v4, v6, v12
	v_fma_f32 v12, 0x3f62ad3f, v37, -v11
	v_mul_f32_e32 v8, 0x3eedf032, v39
	v_dual_add_f32 v38, v38, v25 :: v_dual_add_f32 v5, v5, v27
	s_delay_alu instid0(VALU_DEP_3) | instskip(NEXT) | instid1(VALU_DEP_3)
	v_dual_add_f32 v6, v7, v15 :: v_dual_add_f32 v7, v12, v13
	v_fmamk_f32 v17, v40, 0x3f62ad3f, v8
	v_fmac_f32_e32 v11, 0x3f62ad3f, v37
	v_fma_f32 v12, 0x3f62ad3f, v40, -v8
	v_mul_f32_e32 v15, 0xbf29c268, v35
	v_mul_u32_u24_e32 v27, 0x1556, v0
	v_add_f32_e32 v8, v17, v19
	s_delay_alu instid0(VALU_DEP_4) | instskip(SKIP_2) | instid1(VALU_DEP_3)
	v_dual_mul_f32 v17, 0xbf29c268, v39 :: v_dual_add_f32 v12, v12, v14
	v_add_f32_e32 v11, v11, v16
	v_fma_f32 v13, 0xbf3f9e67, v37, -v15
	v_fmamk_f32 v14, v40, 0xbf3f9e67, v17
	v_mul_f32_e32 v19, 0x3f52af12, v35
	v_fma_f32 v16, 0xbf3f9e67, v40, -v17
	s_delay_alu instid0(VALU_DEP_4) | instskip(NEXT) | instid1(VALU_DEP_4)
	v_add_f32_e32 v13, v13, v18
	v_add_f32_e32 v14, v14, v22
	s_delay_alu instid0(VALU_DEP_4) | instskip(NEXT) | instid1(VALU_DEP_4)
	v_fma_f32 v17, 0x3f116cb1, v37, -v19
	v_add_f32_e32 v16, v16, v23
	v_fmamk_f32 v18, v40, 0x3f116cb1, v21
	v_fma_f32 v21, 0x3f116cb1, v40, -v21
	v_mul_f32_e32 v23, 0xbf6f5d39, v35
	v_add_f32_e32 v17, v17, v29
	s_delay_alu instid0(VALU_DEP_4) | instskip(NEXT) | instid1(VALU_DEP_1)
	v_dual_fmac_f32 v15, 0xbf3f9e67, v37 :: v_dual_add_f32 v18, v18, v30
	v_dual_add_f32 v15, v15, v24 :: v_dual_mul_f32 v24, 0xbf6f5d39, v39
	s_delay_alu instid0(VALU_DEP_1) | instskip(SKIP_1) | instid1(VALU_DEP_1)
	v_fmamk_f32 v25, v40, 0xbeb58ec6, v24
	v_fma_f32 v24, 0xbeb58ec6, v40, -v24
	v_dual_fmac_f32 v19, 0x3f116cb1, v37 :: v_dual_add_f32 v24, v24, v32
	s_delay_alu instid0(VALU_DEP_1) | instskip(SKIP_3) | instid1(VALU_DEP_3)
	v_dual_add_f32 v19, v19, v20 :: v_dual_add_f32 v20, v21, v33
	v_fma_f32 v22, 0xbeb58ec6, v37, -v23
	v_lshrrev_b32_e32 v33, 16, v27
	v_fmac_f32_e32 v23, 0xbeb58ec6, v37
	v_dual_add_f32 v21, v22, v34 :: v_dual_add_f32 v22, v25, v28
	v_mul_f32_e32 v25, 0x3f7e222b, v39
	s_delay_alu instid0(VALU_DEP_4) | instskip(NEXT) | instid1(VALU_DEP_2)
	v_mul_lo_u16 v28, v33, 12
	v_fmamk_f32 v30, v40, 0x3df6dbef, v25
	s_delay_alu instid0(VALU_DEP_2) | instskip(SKIP_1) | instid1(VALU_DEP_3)
	v_sub_nc_u16 v0, v0, v28
	v_fma_f32 v28, 0x3df6dbef, v40, -v25
	v_add_f32_e32 v26, v30, v26
	s_delay_alu instid0(VALU_DEP_2)
	v_add_f32_e32 v28, v28, v41
	ds_store_2addr_b64 v10, v[1:2], v[3:4] offset1:13
	ds_store_2addr_b64 v10, v[7:8], v[13:14] offset0:26 offset1:39
	ds_store_2addr_b64 v10, v[17:18], v[21:22] offset0:52 offset1:65
	v_mul_lo_u16 v1, 0xa9, v0
	v_add_f32_e32 v23, v23, v31
	v_and_b32_e32 v31, 0xffff, v0
	v_mul_lo_u32 v8, s12, v33
	s_mul_i32 s12, s12, 13
	v_and_b32_e32 v2, 0xffff, v1
	s_delay_alu instid0(VALU_DEP_1) | instskip(NEXT) | instid1(VALU_DEP_1)
	v_dual_mul_f32 v27, 0x3f7e222b, v35 :: v_dual_lshlrev_b32 v4, 3, v2
	v_fma_f32 v29, 0x3df6dbef, v37, -v27
	v_fmac_f32_e32 v27, 0x3df6dbef, v37
	v_lshlrev_b64_e32 v[2:3], 3, v[8:9]
	s_wait_alu 0xfffe
	v_add_nc_u32_e32 v8, s12, v8
	v_add_f32_e32 v25, v29, v36
	v_mad_co_u64_u32 v[29:30], null, s0, v31, 0
	v_add_f32_e32 v27, v27, v38
	ds_store_2addr_b64 v10, v[25:26], v[27:28] offset0:78 offset1:91
	v_mov_b32_e32 v0, v30
	ds_store_2addr_b64 v10, v[23:24], v[19:20] offset0:104 offset1:117
	ds_store_2addr_b64 v10, v[15:16], v[11:12] offset0:130 offset1:143
	ds_store_b64 v10, v[5:6] offset:1248
	v_lshlrev_b32_e32 v5, 3, v33
	global_wb scope:SCOPE_SE
	s_wait_dscnt 0x0
	v_mad_co_u64_u32 v[0:1], null, s1, v31, v[0:1]
	s_lshl_b64 s[0:1], s[4:5], 3
	s_barrier_signal -1
	s_barrier_wait -1
	global_inv scope:SCOPE_SE
	s_wait_alu 0xfffe
	s_add_nc_u64 s[0:1], s[14:15], s[0:1]
	v_add3_u32 v24, 0, v5, v4
	v_mov_b32_e32 v30, v0
	v_add3_u32 v0, 0, v4, v5
	s_wait_alu 0xfffe
	s_add_nc_u64 s[0:1], s[0:1], s[2:3]
	s_lshl_b64 s[2:3], s[6:7], 3
	v_lshlrev_b64_e32 v[12:13], 3, v[8:9]
	v_add_nc_u32_e32 v8, s12, v8
	ds_load_b64 v[10:11], v0
	v_lshlrev_b64_e32 v[0:1], 3, v[29:30]
	s_wait_alu 0xfffe
	s_add_nc_u64 s[0:1], s[0:1], s[2:3]
	ds_load_2addr_b64 v[4:7], v24 offset0:39 offset1:52
	v_lshlrev_b64_e32 v[16:17], 3, v[8:9]
	v_add_nc_u32_e32 v8, s12, v8
	s_wait_alu 0xfffe
	v_add_co_u32 v22, vcc_lo, s0, v0
	s_wait_alu 0xfffd
	v_add_co_ci_u32_e32 v23, vcc_lo, s1, v1, vcc_lo
	v_lshlrev_b64_e32 v[18:19], 3, v[8:9]
	s_delay_alu instid0(VALU_DEP_3) | instskip(SKIP_1) | instid1(VALU_DEP_3)
	v_add_co_u32 v14, vcc_lo, v22, v2
	s_wait_alu 0xfffd
	v_add_co_ci_u32_e32 v15, vcc_lo, v23, v3, vcc_lo
	ds_load_2addr_b64 v[0:3], v24 offset0:13 offset1:26
	v_add_co_u32 v12, vcc_lo, v22, v12
	v_add_nc_u32_e32 v8, s12, v8
	s_wait_alu 0xfffd
	v_add_co_ci_u32_e32 v13, vcc_lo, v23, v13, vcc_lo
	v_add_co_u32 v16, vcc_lo, v22, v16
	s_wait_alu 0xfffd
	v_add_co_ci_u32_e32 v17, vcc_lo, v23, v17, vcc_lo
	v_lshlrev_b64_e32 v[20:21], 3, v[8:9]
	v_add_nc_u32_e32 v8, s12, v8
	v_add_co_u32 v18, vcc_lo, v22, v18
	s_wait_alu 0xfffd
	v_add_co_ci_u32_e32 v19, vcc_lo, v23, v19, vcc_lo
	s_wait_dscnt 0x2
	global_store_b64 v[14:15], v[10:11], off
	s_wait_dscnt 0x0
	s_clause 0x2
	global_store_b64 v[12:13], v[0:1], off
	global_store_b64 v[16:17], v[2:3], off
	;; [unrolled: 1-line block ×3, first 2 shown]
	v_lshlrev_b64_e32 v[4:5], 3, v[8:9]
	v_add_nc_u32_e32 v8, s12, v8
	ds_load_2addr_b64 v[0:3], v24 offset0:65 offset1:78
	ds_load_2addr_b64 v[10:13], v24 offset0:91 offset1:104
	v_add_co_u32 v14, vcc_lo, v22, v20
	v_lshlrev_b64_e32 v[16:17], 3, v[8:9]
	v_add_nc_u32_e32 v8, s12, v8
	s_wait_alu 0xfffd
	v_add_co_ci_u32_e32 v15, vcc_lo, v23, v21, vcc_lo
	v_add_co_u32 v4, vcc_lo, v22, v4
	s_delay_alu instid0(VALU_DEP_3)
	v_lshlrev_b64_e32 v[18:19], 3, v[8:9]
	v_add_nc_u32_e32 v8, s12, v8
	s_wait_alu 0xfffd
	v_add_co_ci_u32_e32 v5, vcc_lo, v23, v5, vcc_lo
	v_add_co_u32 v16, vcc_lo, v22, v16
	s_wait_alu 0xfffd
	v_add_co_ci_u32_e32 v17, vcc_lo, v23, v17, vcc_lo
	v_lshlrev_b64_e32 v[20:21], 3, v[8:9]
	v_add_nc_u32_e32 v8, s12, v8
	v_add_co_u32 v18, vcc_lo, v22, v18
	s_wait_alu 0xfffd
	v_add_co_ci_u32_e32 v19, vcc_lo, v23, v19, vcc_lo
	global_store_b64 v[14:15], v[6:7], off
	s_wait_dscnt 0x1
	s_clause 0x1
	global_store_b64 v[4:5], v[0:1], off
	global_store_b64 v[16:17], v[2:3], off
	s_wait_dscnt 0x0
	global_store_b64 v[18:19], v[10:11], off
	v_lshlrev_b64_e32 v[10:11], 3, v[8:9]
	v_add_nc_u32_e32 v8, s12, v8
	ds_load_2addr_b64 v[0:3], v24 offset0:117 offset1:130
	ds_load_2addr_b64 v[4:7], v24 offset0:143 offset1:156
	v_add_co_u32 v14, vcc_lo, v22, v20
	v_lshlrev_b64_e32 v[16:17], 3, v[8:9]
	v_add_nc_u32_e32 v8, s12, v8
	s_wait_alu 0xfffd
	v_add_co_ci_u32_e32 v15, vcc_lo, v23, v21, vcc_lo
	v_add_co_u32 v10, vcc_lo, v22, v10
	s_delay_alu instid0(VALU_DEP_3) | instskip(SKIP_4) | instid1(VALU_DEP_3)
	v_lshlrev_b64_e32 v[18:19], 3, v[8:9]
	v_add_nc_u32_e32 v8, s12, v8
	s_wait_alu 0xfffd
	v_add_co_ci_u32_e32 v11, vcc_lo, v23, v11, vcc_lo
	v_add_co_u32 v16, vcc_lo, v22, v16
	v_lshlrev_b64_e32 v[8:9], 3, v[8:9]
	s_wait_alu 0xfffd
	v_add_co_ci_u32_e32 v17, vcc_lo, v23, v17, vcc_lo
	v_add_co_u32 v18, vcc_lo, v22, v18
	s_wait_alu 0xfffd
	v_add_co_ci_u32_e32 v19, vcc_lo, v23, v19, vcc_lo
	v_add_co_u32 v8, vcc_lo, v22, v8
	s_wait_alu 0xfffd
	v_add_co_ci_u32_e32 v9, vcc_lo, v23, v9, vcc_lo
	global_store_b64 v[14:15], v[12:13], off
	s_wait_dscnt 0x1
	s_clause 0x1
	global_store_b64 v[10:11], v[0:1], off
	global_store_b64 v[16:17], v[2:3], off
	s_wait_dscnt 0x0
	s_clause 0x1
	global_store_b64 v[18:19], v[4:5], off
	global_store_b64 v[8:9], v[6:7], off
	s_nop 0
	s_sendmsg sendmsg(MSG_DEALLOC_VGPRS)
	s_endpgm
	.section	.rodata,"a",@progbits
	.p2align	6, 0x0
	.amdhsa_kernel fft_rtc_fwd_len169_factors_13_13_wgs_156_tpt_13_sp_op_CI_CI_sbrc_z_xy_aligned
		.amdhsa_group_segment_fixed_size 0
		.amdhsa_private_segment_fixed_size 0
		.amdhsa_kernarg_size 104
		.amdhsa_user_sgpr_count 2
		.amdhsa_user_sgpr_dispatch_ptr 0
		.amdhsa_user_sgpr_queue_ptr 0
		.amdhsa_user_sgpr_kernarg_segment_ptr 1
		.amdhsa_user_sgpr_dispatch_id 0
		.amdhsa_user_sgpr_private_segment_size 0
		.amdhsa_wavefront_size32 1
		.amdhsa_uses_dynamic_stack 0
		.amdhsa_enable_private_segment 0
		.amdhsa_system_sgpr_workgroup_id_x 1
		.amdhsa_system_sgpr_workgroup_id_y 0
		.amdhsa_system_sgpr_workgroup_id_z 0
		.amdhsa_system_sgpr_workgroup_info 0
		.amdhsa_system_vgpr_workitem_id 0
		.amdhsa_next_free_vgpr 78
		.amdhsa_next_free_sgpr 26
		.amdhsa_reserve_vcc 1
		.amdhsa_float_round_mode_32 0
		.amdhsa_float_round_mode_16_64 0
		.amdhsa_float_denorm_mode_32 3
		.amdhsa_float_denorm_mode_16_64 3
		.amdhsa_fp16_overflow 0
		.amdhsa_workgroup_processor_mode 1
		.amdhsa_memory_ordered 1
		.amdhsa_forward_progress 0
		.amdhsa_round_robin_scheduling 0
		.amdhsa_exception_fp_ieee_invalid_op 0
		.amdhsa_exception_fp_denorm_src 0
		.amdhsa_exception_fp_ieee_div_zero 0
		.amdhsa_exception_fp_ieee_overflow 0
		.amdhsa_exception_fp_ieee_underflow 0
		.amdhsa_exception_fp_ieee_inexact 0
		.amdhsa_exception_int_div_zero 0
	.end_amdhsa_kernel
	.text
.Lfunc_end0:
	.size	fft_rtc_fwd_len169_factors_13_13_wgs_156_tpt_13_sp_op_CI_CI_sbrc_z_xy_aligned, .Lfunc_end0-fft_rtc_fwd_len169_factors_13_13_wgs_156_tpt_13_sp_op_CI_CI_sbrc_z_xy_aligned
                                        ; -- End function
	.section	.AMDGPU.csdata,"",@progbits
; Kernel info:
; codeLenInByte = 9964
; NumSgprs: 28
; NumVgprs: 78
; ScratchSize: 0
; MemoryBound: 0
; FloatMode: 240
; IeeeMode: 1
; LDSByteSize: 0 bytes/workgroup (compile time only)
; SGPRBlocks: 3
; VGPRBlocks: 9
; NumSGPRsForWavesPerEU: 28
; NumVGPRsForWavesPerEU: 78
; Occupancy: 15
; WaveLimiterHint : 1
; COMPUTE_PGM_RSRC2:SCRATCH_EN: 0
; COMPUTE_PGM_RSRC2:USER_SGPR: 2
; COMPUTE_PGM_RSRC2:TRAP_HANDLER: 0
; COMPUTE_PGM_RSRC2:TGID_X_EN: 1
; COMPUTE_PGM_RSRC2:TGID_Y_EN: 0
; COMPUTE_PGM_RSRC2:TGID_Z_EN: 0
; COMPUTE_PGM_RSRC2:TIDIG_COMP_CNT: 0
	.text
	.p2alignl 7, 3214868480
	.fill 96, 4, 3214868480
	.type	__hip_cuid_73e463e8f0940318,@object ; @__hip_cuid_73e463e8f0940318
	.section	.bss,"aw",@nobits
	.globl	__hip_cuid_73e463e8f0940318
__hip_cuid_73e463e8f0940318:
	.byte	0                               ; 0x0
	.size	__hip_cuid_73e463e8f0940318, 1

	.ident	"AMD clang version 19.0.0git (https://github.com/RadeonOpenCompute/llvm-project roc-6.4.0 25133 c7fe45cf4b819c5991fe208aaa96edf142730f1d)"
	.section	".note.GNU-stack","",@progbits
	.addrsig
	.addrsig_sym __hip_cuid_73e463e8f0940318
	.amdgpu_metadata
---
amdhsa.kernels:
  - .args:
      - .actual_access:  read_only
        .address_space:  global
        .offset:         0
        .size:           8
        .value_kind:     global_buffer
      - .offset:         8
        .size:           8
        .value_kind:     by_value
      - .actual_access:  read_only
        .address_space:  global
        .offset:         16
        .size:           8
        .value_kind:     global_buffer
      - .actual_access:  read_only
        .address_space:  global
        .offset:         24
        .size:           8
        .value_kind:     global_buffer
      - .actual_access:  read_only
        .address_space:  global
        .offset:         32
        .size:           8
        .value_kind:     global_buffer
      - .offset:         40
        .size:           8
        .value_kind:     by_value
      - .actual_access:  read_only
        .address_space:  global
        .offset:         48
        .size:           8
        .value_kind:     global_buffer
      - .actual_access:  read_only
        .address_space:  global
        .offset:         56
        .size:           8
        .value_kind:     global_buffer
      - .offset:         64
        .size:           4
        .value_kind:     by_value
      - .actual_access:  read_only
        .address_space:  global
        .offset:         72
        .size:           8
        .value_kind:     global_buffer
      - .actual_access:  read_only
        .address_space:  global
        .offset:         80
        .size:           8
        .value_kind:     global_buffer
      - .actual_access:  read_only
        .address_space:  global
        .offset:         88
        .size:           8
        .value_kind:     global_buffer
      - .actual_access:  write_only
        .address_space:  global
        .offset:         96
        .size:           8
        .value_kind:     global_buffer
    .group_segment_fixed_size: 0
    .kernarg_segment_align: 8
    .kernarg_segment_size: 104
    .language:       OpenCL C
    .language_version:
      - 2
      - 0
    .max_flat_workgroup_size: 156
    .name:           fft_rtc_fwd_len169_factors_13_13_wgs_156_tpt_13_sp_op_CI_CI_sbrc_z_xy_aligned
    .private_segment_fixed_size: 0
    .sgpr_count:     28
    .sgpr_spill_count: 0
    .symbol:         fft_rtc_fwd_len169_factors_13_13_wgs_156_tpt_13_sp_op_CI_CI_sbrc_z_xy_aligned.kd
    .uniform_work_group_size: 1
    .uses_dynamic_stack: false
    .vgpr_count:     78
    .vgpr_spill_count: 0
    .wavefront_size: 32
    .workgroup_processor_mode: 1
amdhsa.target:   amdgcn-amd-amdhsa--gfx1201
amdhsa.version:
  - 1
  - 2
...

	.end_amdgpu_metadata
